;; amdgpu-corpus repo=ROCm/rocSOLVER kind=compiled arch=gfx906 opt=O3
	.amdgcn_target "amdgcn-amd-amdhsa--gfx906"
	.amdhsa_code_object_version 6
	.section	.text._ZN9rocsolver6v33100L16mfma_gemm_kernelI19rocblas_complex_numIdEiPKS3_PS3_S6_S6_EEv18rocblas_operation_S7_T0_S8_S8_T1_T2_lS8_S8_lT3_lS8_S8_lS9_T4_lS8_S8_l,"axG",@progbits,_ZN9rocsolver6v33100L16mfma_gemm_kernelI19rocblas_complex_numIdEiPKS3_PS3_S6_S6_EEv18rocblas_operation_S7_T0_S8_S8_T1_T2_lS8_S8_lT3_lS8_S8_lS9_T4_lS8_S8_l,comdat
	.globl	_ZN9rocsolver6v33100L16mfma_gemm_kernelI19rocblas_complex_numIdEiPKS3_PS3_S6_S6_EEv18rocblas_operation_S7_T0_S8_S8_T1_T2_lS8_S8_lT3_lS8_S8_lS9_T4_lS8_S8_l ; -- Begin function _ZN9rocsolver6v33100L16mfma_gemm_kernelI19rocblas_complex_numIdEiPKS3_PS3_S6_S6_EEv18rocblas_operation_S7_T0_S8_S8_T1_T2_lS8_S8_lT3_lS8_S8_lS9_T4_lS8_S8_l
	.p2align	8
	.type	_ZN9rocsolver6v33100L16mfma_gemm_kernelI19rocblas_complex_numIdEiPKS3_PS3_S6_S6_EEv18rocblas_operation_S7_T0_S8_S8_T1_T2_lS8_S8_lT3_lS8_S8_lS9_T4_lS8_S8_l,@function
_ZN9rocsolver6v33100L16mfma_gemm_kernelI19rocblas_complex_numIdEiPKS3_PS3_S6_S6_EEv18rocblas_operation_S7_T0_S8_S8_T1_T2_lS8_S8_lT3_lS8_S8_lS9_T4_lS8_S8_l: ; @_ZN9rocsolver6v33100L16mfma_gemm_kernelI19rocblas_complex_numIdEiPKS3_PS3_S6_S6_EEv18rocblas_operation_S7_T0_S8_S8_T1_T2_lS8_S8_lT3_lS8_S8_lS9_T4_lS8_S8_l
; %bb.0:
	s_endpgm
	.section	.rodata,"a",@progbits
	.p2align	6, 0x0
	.amdhsa_kernel _ZN9rocsolver6v33100L16mfma_gemm_kernelI19rocblas_complex_numIdEiPKS3_PS3_S6_S6_EEv18rocblas_operation_S7_T0_S8_S8_T1_T2_lS8_S8_lT3_lS8_S8_lS9_T4_lS8_S8_l
		.amdhsa_group_segment_fixed_size 0
		.amdhsa_private_segment_fixed_size 0
		.amdhsa_kernarg_size 136
		.amdhsa_user_sgpr_count 6
		.amdhsa_user_sgpr_private_segment_buffer 1
		.amdhsa_user_sgpr_dispatch_ptr 0
		.amdhsa_user_sgpr_queue_ptr 0
		.amdhsa_user_sgpr_kernarg_segment_ptr 1
		.amdhsa_user_sgpr_dispatch_id 0
		.amdhsa_user_sgpr_flat_scratch_init 0
		.amdhsa_user_sgpr_private_segment_size 0
		.amdhsa_uses_dynamic_stack 0
		.amdhsa_system_sgpr_private_segment_wavefront_offset 0
		.amdhsa_system_sgpr_workgroup_id_x 1
		.amdhsa_system_sgpr_workgroup_id_y 0
		.amdhsa_system_sgpr_workgroup_id_z 0
		.amdhsa_system_sgpr_workgroup_info 0
		.amdhsa_system_vgpr_workitem_id 0
		.amdhsa_next_free_vgpr 1
		.amdhsa_next_free_sgpr 0
		.amdhsa_reserve_vcc 0
		.amdhsa_reserve_flat_scratch 0
		.amdhsa_float_round_mode_32 0
		.amdhsa_float_round_mode_16_64 0
		.amdhsa_float_denorm_mode_32 3
		.amdhsa_float_denorm_mode_16_64 3
		.amdhsa_dx10_clamp 1
		.amdhsa_ieee_mode 1
		.amdhsa_fp16_overflow 0
		.amdhsa_exception_fp_ieee_invalid_op 0
		.amdhsa_exception_fp_denorm_src 0
		.amdhsa_exception_fp_ieee_div_zero 0
		.amdhsa_exception_fp_ieee_overflow 0
		.amdhsa_exception_fp_ieee_underflow 0
		.amdhsa_exception_fp_ieee_inexact 0
		.amdhsa_exception_int_div_zero 0
	.end_amdhsa_kernel
	.section	.text._ZN9rocsolver6v33100L16mfma_gemm_kernelI19rocblas_complex_numIdEiPKS3_PS3_S6_S6_EEv18rocblas_operation_S7_T0_S8_S8_T1_T2_lS8_S8_lT3_lS8_S8_lS9_T4_lS8_S8_l,"axG",@progbits,_ZN9rocsolver6v33100L16mfma_gemm_kernelI19rocblas_complex_numIdEiPKS3_PS3_S6_S6_EEv18rocblas_operation_S7_T0_S8_S8_T1_T2_lS8_S8_lT3_lS8_S8_lS9_T4_lS8_S8_l,comdat
.Lfunc_end0:
	.size	_ZN9rocsolver6v33100L16mfma_gemm_kernelI19rocblas_complex_numIdEiPKS3_PS3_S6_S6_EEv18rocblas_operation_S7_T0_S8_S8_T1_T2_lS8_S8_lT3_lS8_S8_lS9_T4_lS8_S8_l, .Lfunc_end0-_ZN9rocsolver6v33100L16mfma_gemm_kernelI19rocblas_complex_numIdEiPKS3_PS3_S6_S6_EEv18rocblas_operation_S7_T0_S8_S8_T1_T2_lS8_S8_lT3_lS8_S8_lS9_T4_lS8_S8_l
                                        ; -- End function
	.set _ZN9rocsolver6v33100L16mfma_gemm_kernelI19rocblas_complex_numIdEiPKS3_PS3_S6_S6_EEv18rocblas_operation_S7_T0_S8_S8_T1_T2_lS8_S8_lT3_lS8_S8_lS9_T4_lS8_S8_l.num_vgpr, 0
	.set _ZN9rocsolver6v33100L16mfma_gemm_kernelI19rocblas_complex_numIdEiPKS3_PS3_S6_S6_EEv18rocblas_operation_S7_T0_S8_S8_T1_T2_lS8_S8_lT3_lS8_S8_lS9_T4_lS8_S8_l.num_agpr, 0
	.set _ZN9rocsolver6v33100L16mfma_gemm_kernelI19rocblas_complex_numIdEiPKS3_PS3_S6_S6_EEv18rocblas_operation_S7_T0_S8_S8_T1_T2_lS8_S8_lT3_lS8_S8_lS9_T4_lS8_S8_l.numbered_sgpr, 0
	.set _ZN9rocsolver6v33100L16mfma_gemm_kernelI19rocblas_complex_numIdEiPKS3_PS3_S6_S6_EEv18rocblas_operation_S7_T0_S8_S8_T1_T2_lS8_S8_lT3_lS8_S8_lS9_T4_lS8_S8_l.num_named_barrier, 0
	.set _ZN9rocsolver6v33100L16mfma_gemm_kernelI19rocblas_complex_numIdEiPKS3_PS3_S6_S6_EEv18rocblas_operation_S7_T0_S8_S8_T1_T2_lS8_S8_lT3_lS8_S8_lS9_T4_lS8_S8_l.private_seg_size, 0
	.set _ZN9rocsolver6v33100L16mfma_gemm_kernelI19rocblas_complex_numIdEiPKS3_PS3_S6_S6_EEv18rocblas_operation_S7_T0_S8_S8_T1_T2_lS8_S8_lT3_lS8_S8_lS9_T4_lS8_S8_l.uses_vcc, 0
	.set _ZN9rocsolver6v33100L16mfma_gemm_kernelI19rocblas_complex_numIdEiPKS3_PS3_S6_S6_EEv18rocblas_operation_S7_T0_S8_S8_T1_T2_lS8_S8_lT3_lS8_S8_lS9_T4_lS8_S8_l.uses_flat_scratch, 0
	.set _ZN9rocsolver6v33100L16mfma_gemm_kernelI19rocblas_complex_numIdEiPKS3_PS3_S6_S6_EEv18rocblas_operation_S7_T0_S8_S8_T1_T2_lS8_S8_lT3_lS8_S8_lS9_T4_lS8_S8_l.has_dyn_sized_stack, 0
	.set _ZN9rocsolver6v33100L16mfma_gemm_kernelI19rocblas_complex_numIdEiPKS3_PS3_S6_S6_EEv18rocblas_operation_S7_T0_S8_S8_T1_T2_lS8_S8_lT3_lS8_S8_lS9_T4_lS8_S8_l.has_recursion, 0
	.set _ZN9rocsolver6v33100L16mfma_gemm_kernelI19rocblas_complex_numIdEiPKS3_PS3_S6_S6_EEv18rocblas_operation_S7_T0_S8_S8_T1_T2_lS8_S8_lT3_lS8_S8_lS9_T4_lS8_S8_l.has_indirect_call, 0
	.section	.AMDGPU.csdata,"",@progbits
; Kernel info:
; codeLenInByte = 4
; TotalNumSgprs: 4
; NumVgprs: 0
; ScratchSize: 0
; MemoryBound: 0
; FloatMode: 240
; IeeeMode: 1
; LDSByteSize: 0 bytes/workgroup (compile time only)
; SGPRBlocks: 0
; VGPRBlocks: 0
; NumSGPRsForWavesPerEU: 4
; NumVGPRsForWavesPerEU: 1
; Occupancy: 10
; WaveLimiterHint : 0
; COMPUTE_PGM_RSRC2:SCRATCH_EN: 0
; COMPUTE_PGM_RSRC2:USER_SGPR: 6
; COMPUTE_PGM_RSRC2:TRAP_HANDLER: 0
; COMPUTE_PGM_RSRC2:TGID_X_EN: 1
; COMPUTE_PGM_RSRC2:TGID_Y_EN: 0
; COMPUTE_PGM_RSRC2:TGID_Z_EN: 0
; COMPUTE_PGM_RSRC2:TIDIG_COMP_CNT: 0
	.section	.text._ZN9rocsolver6v33100L16mfma_gemm_kernelI19rocblas_complex_numIdEiS3_PS3_S4_S4_EEv18rocblas_operation_S5_T0_S6_S6_T1_T2_lS6_S6_lT3_lS6_S6_lS7_T4_lS6_S6_l,"axG",@progbits,_ZN9rocsolver6v33100L16mfma_gemm_kernelI19rocblas_complex_numIdEiS3_PS3_S4_S4_EEv18rocblas_operation_S5_T0_S6_S6_T1_T2_lS6_S6_lT3_lS6_S6_lS7_T4_lS6_S6_l,comdat
	.globl	_ZN9rocsolver6v33100L16mfma_gemm_kernelI19rocblas_complex_numIdEiS3_PS3_S4_S4_EEv18rocblas_operation_S5_T0_S6_S6_T1_T2_lS6_S6_lT3_lS6_S6_lS7_T4_lS6_S6_l ; -- Begin function _ZN9rocsolver6v33100L16mfma_gemm_kernelI19rocblas_complex_numIdEiS3_PS3_S4_S4_EEv18rocblas_operation_S5_T0_S6_S6_T1_T2_lS6_S6_lT3_lS6_S6_lS7_T4_lS6_S6_l
	.p2align	8
	.type	_ZN9rocsolver6v33100L16mfma_gemm_kernelI19rocblas_complex_numIdEiS3_PS3_S4_S4_EEv18rocblas_operation_S5_T0_S6_S6_T1_T2_lS6_S6_lT3_lS6_S6_lS7_T4_lS6_S6_l,@function
_ZN9rocsolver6v33100L16mfma_gemm_kernelI19rocblas_complex_numIdEiS3_PS3_S4_S4_EEv18rocblas_operation_S5_T0_S6_S6_T1_T2_lS6_S6_lT3_lS6_S6_lS7_T4_lS6_S6_l: ; @_ZN9rocsolver6v33100L16mfma_gemm_kernelI19rocblas_complex_numIdEiS3_PS3_S4_S4_EEv18rocblas_operation_S5_T0_S6_S6_T1_T2_lS6_S6_lT3_lS6_S6_lS7_T4_lS6_S6_l
; %bb.0:
	s_endpgm
	.section	.rodata,"a",@progbits
	.p2align	6, 0x0
	.amdhsa_kernel _ZN9rocsolver6v33100L16mfma_gemm_kernelI19rocblas_complex_numIdEiS3_PS3_S4_S4_EEv18rocblas_operation_S5_T0_S6_S6_T1_T2_lS6_S6_lT3_lS6_S6_lS7_T4_lS6_S6_l
		.amdhsa_group_segment_fixed_size 0
		.amdhsa_private_segment_fixed_size 0
		.amdhsa_kernarg_size 152
		.amdhsa_user_sgpr_count 6
		.amdhsa_user_sgpr_private_segment_buffer 1
		.amdhsa_user_sgpr_dispatch_ptr 0
		.amdhsa_user_sgpr_queue_ptr 0
		.amdhsa_user_sgpr_kernarg_segment_ptr 1
		.amdhsa_user_sgpr_dispatch_id 0
		.amdhsa_user_sgpr_flat_scratch_init 0
		.amdhsa_user_sgpr_private_segment_size 0
		.amdhsa_uses_dynamic_stack 0
		.amdhsa_system_sgpr_private_segment_wavefront_offset 0
		.amdhsa_system_sgpr_workgroup_id_x 1
		.amdhsa_system_sgpr_workgroup_id_y 0
		.amdhsa_system_sgpr_workgroup_id_z 0
		.amdhsa_system_sgpr_workgroup_info 0
		.amdhsa_system_vgpr_workitem_id 0
		.amdhsa_next_free_vgpr 1
		.amdhsa_next_free_sgpr 0
		.amdhsa_reserve_vcc 0
		.amdhsa_reserve_flat_scratch 0
		.amdhsa_float_round_mode_32 0
		.amdhsa_float_round_mode_16_64 0
		.amdhsa_float_denorm_mode_32 3
		.amdhsa_float_denorm_mode_16_64 3
		.amdhsa_dx10_clamp 1
		.amdhsa_ieee_mode 1
		.amdhsa_fp16_overflow 0
		.amdhsa_exception_fp_ieee_invalid_op 0
		.amdhsa_exception_fp_denorm_src 0
		.amdhsa_exception_fp_ieee_div_zero 0
		.amdhsa_exception_fp_ieee_overflow 0
		.amdhsa_exception_fp_ieee_underflow 0
		.amdhsa_exception_fp_ieee_inexact 0
		.amdhsa_exception_int_div_zero 0
	.end_amdhsa_kernel
	.section	.text._ZN9rocsolver6v33100L16mfma_gemm_kernelI19rocblas_complex_numIdEiS3_PS3_S4_S4_EEv18rocblas_operation_S5_T0_S6_S6_T1_T2_lS6_S6_lT3_lS6_S6_lS7_T4_lS6_S6_l,"axG",@progbits,_ZN9rocsolver6v33100L16mfma_gemm_kernelI19rocblas_complex_numIdEiS3_PS3_S4_S4_EEv18rocblas_operation_S5_T0_S6_S6_T1_T2_lS6_S6_lT3_lS6_S6_lS7_T4_lS6_S6_l,comdat
.Lfunc_end1:
	.size	_ZN9rocsolver6v33100L16mfma_gemm_kernelI19rocblas_complex_numIdEiS3_PS3_S4_S4_EEv18rocblas_operation_S5_T0_S6_S6_T1_T2_lS6_S6_lT3_lS6_S6_lS7_T4_lS6_S6_l, .Lfunc_end1-_ZN9rocsolver6v33100L16mfma_gemm_kernelI19rocblas_complex_numIdEiS3_PS3_S4_S4_EEv18rocblas_operation_S5_T0_S6_S6_T1_T2_lS6_S6_lT3_lS6_S6_lS7_T4_lS6_S6_l
                                        ; -- End function
	.set _ZN9rocsolver6v33100L16mfma_gemm_kernelI19rocblas_complex_numIdEiS3_PS3_S4_S4_EEv18rocblas_operation_S5_T0_S6_S6_T1_T2_lS6_S6_lT3_lS6_S6_lS7_T4_lS6_S6_l.num_vgpr, 0
	.set _ZN9rocsolver6v33100L16mfma_gemm_kernelI19rocblas_complex_numIdEiS3_PS3_S4_S4_EEv18rocblas_operation_S5_T0_S6_S6_T1_T2_lS6_S6_lT3_lS6_S6_lS7_T4_lS6_S6_l.num_agpr, 0
	.set _ZN9rocsolver6v33100L16mfma_gemm_kernelI19rocblas_complex_numIdEiS3_PS3_S4_S4_EEv18rocblas_operation_S5_T0_S6_S6_T1_T2_lS6_S6_lT3_lS6_S6_lS7_T4_lS6_S6_l.numbered_sgpr, 0
	.set _ZN9rocsolver6v33100L16mfma_gemm_kernelI19rocblas_complex_numIdEiS3_PS3_S4_S4_EEv18rocblas_operation_S5_T0_S6_S6_T1_T2_lS6_S6_lT3_lS6_S6_lS7_T4_lS6_S6_l.num_named_barrier, 0
	.set _ZN9rocsolver6v33100L16mfma_gemm_kernelI19rocblas_complex_numIdEiS3_PS3_S4_S4_EEv18rocblas_operation_S5_T0_S6_S6_T1_T2_lS6_S6_lT3_lS6_S6_lS7_T4_lS6_S6_l.private_seg_size, 0
	.set _ZN9rocsolver6v33100L16mfma_gemm_kernelI19rocblas_complex_numIdEiS3_PS3_S4_S4_EEv18rocblas_operation_S5_T0_S6_S6_T1_T2_lS6_S6_lT3_lS6_S6_lS7_T4_lS6_S6_l.uses_vcc, 0
	.set _ZN9rocsolver6v33100L16mfma_gemm_kernelI19rocblas_complex_numIdEiS3_PS3_S4_S4_EEv18rocblas_operation_S5_T0_S6_S6_T1_T2_lS6_S6_lT3_lS6_S6_lS7_T4_lS6_S6_l.uses_flat_scratch, 0
	.set _ZN9rocsolver6v33100L16mfma_gemm_kernelI19rocblas_complex_numIdEiS3_PS3_S4_S4_EEv18rocblas_operation_S5_T0_S6_S6_T1_T2_lS6_S6_lT3_lS6_S6_lS7_T4_lS6_S6_l.has_dyn_sized_stack, 0
	.set _ZN9rocsolver6v33100L16mfma_gemm_kernelI19rocblas_complex_numIdEiS3_PS3_S4_S4_EEv18rocblas_operation_S5_T0_S6_S6_T1_T2_lS6_S6_lT3_lS6_S6_lS7_T4_lS6_S6_l.has_recursion, 0
	.set _ZN9rocsolver6v33100L16mfma_gemm_kernelI19rocblas_complex_numIdEiS3_PS3_S4_S4_EEv18rocblas_operation_S5_T0_S6_S6_T1_T2_lS6_S6_lT3_lS6_S6_lS7_T4_lS6_S6_l.has_indirect_call, 0
	.section	.AMDGPU.csdata,"",@progbits
; Kernel info:
; codeLenInByte = 4
; TotalNumSgprs: 4
; NumVgprs: 0
; ScratchSize: 0
; MemoryBound: 0
; FloatMode: 240
; IeeeMode: 1
; LDSByteSize: 0 bytes/workgroup (compile time only)
; SGPRBlocks: 0
; VGPRBlocks: 0
; NumSGPRsForWavesPerEU: 4
; NumVGPRsForWavesPerEU: 1
; Occupancy: 10
; WaveLimiterHint : 0
; COMPUTE_PGM_RSRC2:SCRATCH_EN: 0
; COMPUTE_PGM_RSRC2:USER_SGPR: 6
; COMPUTE_PGM_RSRC2:TRAP_HANDLER: 0
; COMPUTE_PGM_RSRC2:TGID_X_EN: 1
; COMPUTE_PGM_RSRC2:TGID_Y_EN: 0
; COMPUTE_PGM_RSRC2:TGID_Z_EN: 0
; COMPUTE_PGM_RSRC2:TIDIG_COMP_CNT: 0
	.section	.text._ZN9rocsolver6v33100L11gemm_kernelI19rocblas_complex_numIdEiPKS3_PS3_S6_S6_EEvT0_S7_S7_T1_bT2_lS7_S7_lbT3_lS7_S7_lS8_T4_lS7_S7_l,"axG",@progbits,_ZN9rocsolver6v33100L11gemm_kernelI19rocblas_complex_numIdEiPKS3_PS3_S6_S6_EEvT0_S7_S7_T1_bT2_lS7_S7_lbT3_lS7_S7_lS8_T4_lS7_S7_l,comdat
	.globl	_ZN9rocsolver6v33100L11gemm_kernelI19rocblas_complex_numIdEiPKS3_PS3_S6_S6_EEvT0_S7_S7_T1_bT2_lS7_S7_lbT3_lS7_S7_lS8_T4_lS7_S7_l ; -- Begin function _ZN9rocsolver6v33100L11gemm_kernelI19rocblas_complex_numIdEiPKS3_PS3_S6_S6_EEvT0_S7_S7_T1_bT2_lS7_S7_lbT3_lS7_S7_lS8_T4_lS7_S7_l
	.p2align	8
	.type	_ZN9rocsolver6v33100L11gemm_kernelI19rocblas_complex_numIdEiPKS3_PS3_S6_S6_EEvT0_S7_S7_T1_bT2_lS7_S7_lbT3_lS7_S7_lS8_T4_lS7_S7_l,@function
_ZN9rocsolver6v33100L11gemm_kernelI19rocblas_complex_numIdEiPKS3_PS3_S6_S6_EEvT0_S7_S7_T1_bT2_lS7_S7_lbT3_lS7_S7_lS8_T4_lS7_S7_l: ; @_ZN9rocsolver6v33100L11gemm_kernelI19rocblas_complex_numIdEiPKS3_PS3_S6_S6_EEvT0_S7_S7_T1_bT2_lS7_S7_lbT3_lS7_S7_lS8_T4_lS7_S7_l
; %bb.0:
	s_load_dword s0, s[4:5], 0x9c
	s_load_dwordx4 s[28:31], s[4:5], 0x0
	s_waitcnt lgkmcnt(0)
	s_lshr_b32 s1, s0, 16
	s_and_b32 s0, s0, 0xffff
	s_mul_i32 s6, s6, s0
	s_mul_i32 s7, s7, s1
	v_add_u32_e32 v9, s6, v0
	v_add_u32_e32 v8, s7, v1
	v_cmp_gt_i32_e32 vcc, s28, v9
	v_cmp_gt_i32_e64 s[0:1], s29, v8
	s_and_b64 s[0:1], vcc, s[0:1]
	s_and_saveexec_b64 s[2:3], s[0:1]
	s_cbranch_execz .LBB2_6
; %bb.1:
	s_load_dwordx2 s[6:7], s[4:5], 0x10
	s_load_dwordx8 s[12:19], s[4:5], 0x60
	s_ashr_i32 s9, s8, 31
	s_cmp_lt_i32 s30, 1
	s_cbranch_scc1 .LBB2_4
; %bb.2:
	s_load_dword s0, s[4:5], 0x18
	s_load_dwordx8 s[20:27], s[4:5], 0x20
	s_load_dword s1, s[4:5], 0x40
	s_load_dwordx4 s[36:39], s[4:5], 0x48
	s_load_dwordx2 s[28:29], s[4:5], 0x58
	s_waitcnt lgkmcnt(0)
	s_bitcmp1_b32 s0, 0
	s_cselect_b64 vcc, -1, 0
	s_bitcmp1_b32 s1, 0
	s_mul_i32 s2, s26, s9
	s_mul_hi_u32 s3, s26, s8
	s_cselect_b64 s[0:1], -1, 0
	v_mul_lo_u32 v0, v9, s24
	s_add_i32 s2, s3, s2
	s_mul_i32 s3, s27, s8
	s_add_i32 s3, s2, s3
	s_mul_i32 s2, s26, s8
	s_lshl_b64 s[2:3], s[2:3], 4
	s_lshl_b64 s[10:11], s[22:23], 4
	s_add_u32 s2, s2, s10
	s_addc_u32 s3, s3, s11
	v_ashrrev_i32_e32 v1, 31, v0
	v_lshlrev_b64 v[0:1], 4, v[0:1]
	s_add_u32 s2, s20, s2
	s_addc_u32 s3, s21, s3
	v_mov_b32_e32 v3, s3
	v_add_co_u32_e64 v0, s[2:3], s2, v0
	v_addc_co_u32_e64 v1, s[2:3], v3, v1, s[2:3]
	v_add_co_u32_e64 v4, s[2:3], 8, v0
	v_addc_co_u32_e64 v5, s[2:3], 0, v1, s[2:3]
	s_ashr_i32 s3, s25, 31
	s_mov_b32 s2, s25
	s_lshl_b64 s[10:11], s[2:3], 4
	s_mul_i32 s2, s12, s9
	s_mul_hi_u32 s3, s12, s8
	v_mul_lo_u32 v2, v8, s29
	s_add_i32 s2, s3, s2
	s_mul_i32 s3, s13, s8
	s_add_i32 s3, s2, s3
	s_mul_i32 s2, s12, s8
	s_lshl_b64 s[2:3], s[2:3], 4
	s_lshl_b64 s[12:13], s[38:39], 4
	s_add_u32 s2, s2, s12
	s_addc_u32 s3, s3, s13
	v_ashrrev_i32_e32 v3, 31, v2
	v_lshlrev_b64 v[0:1], 4, v[2:3]
	s_add_u32 s2, s36, s2
	s_addc_u32 s3, s37, s3
	v_mov_b32_e32 v2, s3
	v_add_co_u32_e64 v0, s[2:3], s2, v0
	v_addc_co_u32_e64 v1, s[2:3], v2, v1, s[2:3]
	v_add_co_u32_e64 v6, s[2:3], 8, v0
	s_ashr_i32 s29, s28, 31
	v_addc_co_u32_e64 v7, s[2:3], 0, v1, s[2:3]
	s_lshl_b64 s[12:13], s[28:29], 4
	v_mov_b32_e32 v0, 0
	v_mov_b32_e32 v2, 0
	;; [unrolled: 1-line block ×6, first 2 shown]
.LBB2_3:                                ; =>This Inner Loop Header: Depth=1
	global_load_dwordx4 v[12:15], v[4:5], off offset:-8
	global_load_dwordx4 v[16:19], v[6:7], off offset:-8
	v_add_co_u32_e64 v4, s[2:3], s10, v4
	v_addc_co_u32_e64 v5, s[2:3], v5, v10, s[2:3]
	s_add_i32 s30, s30, -1
	v_add_co_u32_e64 v6, s[2:3], s12, v6
	s_cmp_eq_u32 s30, 0
	v_addc_co_u32_e64 v7, s[2:3], v7, v11, s[2:3]
	s_waitcnt vmcnt(1)
	v_xor_b32_e32 v20, 0x80000000, v15
	s_waitcnt vmcnt(0)
	v_xor_b32_e32 v21, 0x80000000, v19
	v_cndmask_b32_e32 v15, v15, v20, vcc
	v_cndmask_b32_e64 v19, v19, v21, s[0:1]
	v_mul_f64 v[20:21], v[14:15], v[18:19]
	v_mul_f64 v[14:15], v[14:15], v[16:17]
	v_fma_f64 v[20:21], v[12:13], v[16:17], -v[20:21]
	v_fma_f64 v[12:13], v[12:13], v[18:19], v[14:15]
	v_add_f64 v[2:3], v[2:3], v[20:21]
	v_add_f64 v[0:1], v[0:1], v[12:13]
	s_cbranch_scc0 .LBB2_3
	s_branch .LBB2_5
.LBB2_4:
	v_mov_b32_e32 v0, 0
	v_mov_b32_e32 v2, 0
	;; [unrolled: 1-line block ×4, first 2 shown]
.LBB2_5:
	s_waitcnt lgkmcnt(0)
	s_load_dwordx4 s[20:23], s[6:7], 0x0
	s_load_dwordx4 s[0:3], s[14:15], 0x0
                                        ; kill: killed $sgpr14_sgpr15
                                        ; kill: killed $sgpr6_sgpr7
	s_nop 0
	s_load_dwordx4 s[4:7], s[4:5], 0x80
	s_waitcnt lgkmcnt(0)
	v_mul_f64 v[10:11], s[22:23], v[0:1]
	v_mul_f64 v[0:1], s[20:21], v[0:1]
	v_mul_lo_u32 v4, v9, s4
	s_mul_i32 s9, s6, s9
	s_mul_hi_u32 s10, s6, s8
	s_mul_i32 s7, s7, s8
	s_add_i32 s4, s10, s9
	s_add_i32 s7, s4, s7
	v_mad_u64_u32 v[4:5], s[4:5], v8, s5, v[4:5]
	s_mul_i32 s6, s6, s8
	s_lshl_b64 s[6:7], s[6:7], 4
	s_add_u32 s6, s16, s6
	s_addc_u32 s7, s17, s7
	s_lshl_b64 s[4:5], s[18:19], 4
	v_ashrrev_i32_e32 v5, 31, v4
	s_add_u32 s4, s6, s4
	v_lshlrev_b64 v[4:5], 4, v[4:5]
	s_addc_u32 s5, s7, s5
	v_mov_b32_e32 v6, s5
	v_add_co_u32_e32 v8, vcc, s4, v4
	v_addc_co_u32_e32 v9, vcc, v6, v5, vcc
	global_load_dwordx4 v[4:7], v[8:9], off
	v_fma_f64 v[10:11], s[20:21], v[2:3], -v[10:11]
	v_fma_f64 v[2:3], s[22:23], v[2:3], v[0:1]
	s_waitcnt vmcnt(0)
	v_mul_f64 v[12:13], s[2:3], v[6:7]
	v_mul_f64 v[6:7], s[0:1], v[6:7]
	v_fma_f64 v[0:1], s[0:1], v[4:5], -v[12:13]
	v_fma_f64 v[4:5], s[2:3], v[4:5], v[6:7]
	v_add_f64 v[0:1], v[10:11], v[0:1]
	v_add_f64 v[2:3], v[2:3], v[4:5]
	global_store_dwordx4 v[8:9], v[0:3], off
.LBB2_6:
	s_endpgm
	.section	.rodata,"a",@progbits
	.p2align	6, 0x0
	.amdhsa_kernel _ZN9rocsolver6v33100L11gemm_kernelI19rocblas_complex_numIdEiPKS3_PS3_S6_S6_EEvT0_S7_S7_T1_bT2_lS7_S7_lbT3_lS7_S7_lS8_T4_lS7_S7_l
		.amdhsa_group_segment_fixed_size 0
		.amdhsa_private_segment_fixed_size 0
		.amdhsa_kernarg_size 400
		.amdhsa_user_sgpr_count 6
		.amdhsa_user_sgpr_private_segment_buffer 1
		.amdhsa_user_sgpr_dispatch_ptr 0
		.amdhsa_user_sgpr_queue_ptr 0
		.amdhsa_user_sgpr_kernarg_segment_ptr 1
		.amdhsa_user_sgpr_dispatch_id 0
		.amdhsa_user_sgpr_flat_scratch_init 0
		.amdhsa_user_sgpr_private_segment_size 0
		.amdhsa_uses_dynamic_stack 0
		.amdhsa_system_sgpr_private_segment_wavefront_offset 0
		.amdhsa_system_sgpr_workgroup_id_x 1
		.amdhsa_system_sgpr_workgroup_id_y 1
		.amdhsa_system_sgpr_workgroup_id_z 1
		.amdhsa_system_sgpr_workgroup_info 0
		.amdhsa_system_vgpr_workitem_id 1
		.amdhsa_next_free_vgpr 22
		.amdhsa_next_free_sgpr 40
		.amdhsa_reserve_vcc 1
		.amdhsa_reserve_flat_scratch 0
		.amdhsa_float_round_mode_32 0
		.amdhsa_float_round_mode_16_64 0
		.amdhsa_float_denorm_mode_32 3
		.amdhsa_float_denorm_mode_16_64 3
		.amdhsa_dx10_clamp 1
		.amdhsa_ieee_mode 1
		.amdhsa_fp16_overflow 0
		.amdhsa_exception_fp_ieee_invalid_op 0
		.amdhsa_exception_fp_denorm_src 0
		.amdhsa_exception_fp_ieee_div_zero 0
		.amdhsa_exception_fp_ieee_overflow 0
		.amdhsa_exception_fp_ieee_underflow 0
		.amdhsa_exception_fp_ieee_inexact 0
		.amdhsa_exception_int_div_zero 0
	.end_amdhsa_kernel
	.section	.text._ZN9rocsolver6v33100L11gemm_kernelI19rocblas_complex_numIdEiPKS3_PS3_S6_S6_EEvT0_S7_S7_T1_bT2_lS7_S7_lbT3_lS7_S7_lS8_T4_lS7_S7_l,"axG",@progbits,_ZN9rocsolver6v33100L11gemm_kernelI19rocblas_complex_numIdEiPKS3_PS3_S6_S6_EEvT0_S7_S7_T1_bT2_lS7_S7_lbT3_lS7_S7_lS8_T4_lS7_S7_l,comdat
.Lfunc_end2:
	.size	_ZN9rocsolver6v33100L11gemm_kernelI19rocblas_complex_numIdEiPKS3_PS3_S6_S6_EEvT0_S7_S7_T1_bT2_lS7_S7_lbT3_lS7_S7_lS8_T4_lS7_S7_l, .Lfunc_end2-_ZN9rocsolver6v33100L11gemm_kernelI19rocblas_complex_numIdEiPKS3_PS3_S6_S6_EEvT0_S7_S7_T1_bT2_lS7_S7_lbT3_lS7_S7_lS8_T4_lS7_S7_l
                                        ; -- End function
	.set _ZN9rocsolver6v33100L11gemm_kernelI19rocblas_complex_numIdEiPKS3_PS3_S6_S6_EEvT0_S7_S7_T1_bT2_lS7_S7_lbT3_lS7_S7_lS8_T4_lS7_S7_l.num_vgpr, 22
	.set _ZN9rocsolver6v33100L11gemm_kernelI19rocblas_complex_numIdEiPKS3_PS3_S6_S6_EEvT0_S7_S7_T1_bT2_lS7_S7_lbT3_lS7_S7_lS8_T4_lS7_S7_l.num_agpr, 0
	.set _ZN9rocsolver6v33100L11gemm_kernelI19rocblas_complex_numIdEiPKS3_PS3_S6_S6_EEvT0_S7_S7_T1_bT2_lS7_S7_lbT3_lS7_S7_lS8_T4_lS7_S7_l.numbered_sgpr, 40
	.set _ZN9rocsolver6v33100L11gemm_kernelI19rocblas_complex_numIdEiPKS3_PS3_S6_S6_EEvT0_S7_S7_T1_bT2_lS7_S7_lbT3_lS7_S7_lS8_T4_lS7_S7_l.num_named_barrier, 0
	.set _ZN9rocsolver6v33100L11gemm_kernelI19rocblas_complex_numIdEiPKS3_PS3_S6_S6_EEvT0_S7_S7_T1_bT2_lS7_S7_lbT3_lS7_S7_lS8_T4_lS7_S7_l.private_seg_size, 0
	.set _ZN9rocsolver6v33100L11gemm_kernelI19rocblas_complex_numIdEiPKS3_PS3_S6_S6_EEvT0_S7_S7_T1_bT2_lS7_S7_lbT3_lS7_S7_lS8_T4_lS7_S7_l.uses_vcc, 1
	.set _ZN9rocsolver6v33100L11gemm_kernelI19rocblas_complex_numIdEiPKS3_PS3_S6_S6_EEvT0_S7_S7_T1_bT2_lS7_S7_lbT3_lS7_S7_lS8_T4_lS7_S7_l.uses_flat_scratch, 0
	.set _ZN9rocsolver6v33100L11gemm_kernelI19rocblas_complex_numIdEiPKS3_PS3_S6_S6_EEvT0_S7_S7_T1_bT2_lS7_S7_lbT3_lS7_S7_lS8_T4_lS7_S7_l.has_dyn_sized_stack, 0
	.set _ZN9rocsolver6v33100L11gemm_kernelI19rocblas_complex_numIdEiPKS3_PS3_S6_S6_EEvT0_S7_S7_T1_bT2_lS7_S7_lbT3_lS7_S7_lS8_T4_lS7_S7_l.has_recursion, 0
	.set _ZN9rocsolver6v33100L11gemm_kernelI19rocblas_complex_numIdEiPKS3_PS3_S6_S6_EEvT0_S7_S7_T1_bT2_lS7_S7_lbT3_lS7_S7_lS8_T4_lS7_S7_l.has_indirect_call, 0
	.section	.AMDGPU.csdata,"",@progbits
; Kernel info:
; codeLenInByte = 804
; TotalNumSgprs: 44
; NumVgprs: 22
; ScratchSize: 0
; MemoryBound: 0
; FloatMode: 240
; IeeeMode: 1
; LDSByteSize: 0 bytes/workgroup (compile time only)
; SGPRBlocks: 5
; VGPRBlocks: 5
; NumSGPRsForWavesPerEU: 44
; NumVGPRsForWavesPerEU: 22
; Occupancy: 10
; WaveLimiterHint : 1
; COMPUTE_PGM_RSRC2:SCRATCH_EN: 0
; COMPUTE_PGM_RSRC2:USER_SGPR: 6
; COMPUTE_PGM_RSRC2:TRAP_HANDLER: 0
; COMPUTE_PGM_RSRC2:TGID_X_EN: 1
; COMPUTE_PGM_RSRC2:TGID_Y_EN: 1
; COMPUTE_PGM_RSRC2:TGID_Z_EN: 1
; COMPUTE_PGM_RSRC2:TIDIG_COMP_CNT: 1
	.section	.text._ZN9rocsolver6v33100L11gemm_kernelI19rocblas_complex_numIdEiS3_PS3_S4_S4_EEvT0_S5_S5_T1_bT2_lS5_S5_lbT3_lS5_S5_lS6_T4_lS5_S5_l,"axG",@progbits,_ZN9rocsolver6v33100L11gemm_kernelI19rocblas_complex_numIdEiS3_PS3_S4_S4_EEvT0_S5_S5_T1_bT2_lS5_S5_lbT3_lS5_S5_lS6_T4_lS5_S5_l,comdat
	.globl	_ZN9rocsolver6v33100L11gemm_kernelI19rocblas_complex_numIdEiS3_PS3_S4_S4_EEvT0_S5_S5_T1_bT2_lS5_S5_lbT3_lS5_S5_lS6_T4_lS5_S5_l ; -- Begin function _ZN9rocsolver6v33100L11gemm_kernelI19rocblas_complex_numIdEiS3_PS3_S4_S4_EEvT0_S5_S5_T1_bT2_lS5_S5_lbT3_lS5_S5_lS6_T4_lS5_S5_l
	.p2align	8
	.type	_ZN9rocsolver6v33100L11gemm_kernelI19rocblas_complex_numIdEiS3_PS3_S4_S4_EEvT0_S5_S5_T1_bT2_lS5_S5_lbT3_lS5_S5_lS6_T4_lS5_S5_l,@function
_ZN9rocsolver6v33100L11gemm_kernelI19rocblas_complex_numIdEiS3_PS3_S4_S4_EEvT0_S5_S5_T1_bT2_lS5_S5_lbT3_lS5_S5_lS6_T4_lS5_S5_l: ; @_ZN9rocsolver6v33100L11gemm_kernelI19rocblas_complex_numIdEiS3_PS3_S4_S4_EEvT0_S5_S5_T1_bT2_lS5_S5_lbT3_lS5_S5_lS6_T4_lS5_S5_l
; %bb.0:
	s_load_dword s0, s[4:5], 0xac
	s_load_dwordx4 s[28:31], s[4:5], 0x0
	s_waitcnt lgkmcnt(0)
	s_lshr_b32 s1, s0, 16
	s_and_b32 s0, s0, 0xffff
	s_mul_i32 s6, s6, s0
	s_mul_i32 s7, s7, s1
	v_add_u32_e32 v9, s6, v0
	v_add_u32_e32 v8, s7, v1
	v_cmp_gt_i32_e32 vcc, s28, v9
	v_cmp_gt_i32_e64 s[0:1], s29, v8
	s_and_b64 s[0:1], vcc, s[0:1]
	s_and_saveexec_b64 s[2:3], s[0:1]
	s_cbranch_execz .LBB3_6
; %bb.1:
	s_load_dwordx2 s[6:7], s[4:5], 0x88
	s_load_dwordx8 s[12:19], s[4:5], 0x68
	s_ashr_i32 s9, s8, 31
	s_cmp_lt_i32 s30, 1
	s_cbranch_scc1 .LBB3_4
; %bb.2:
	s_load_dword s0, s[4:5], 0x20
	s_load_dwordx8 s[20:27], s[4:5], 0x28
	s_load_dword s1, s[4:5], 0x48
	s_load_dwordx4 s[36:39], s[4:5], 0x50
	s_load_dwordx2 s[28:29], s[4:5], 0x60
	s_waitcnt lgkmcnt(0)
	s_bitcmp1_b32 s0, 0
	s_cselect_b64 vcc, -1, 0
	s_bitcmp1_b32 s1, 0
	s_mul_i32 s2, s26, s9
	s_mul_hi_u32 s3, s26, s8
	s_cselect_b64 s[0:1], -1, 0
	v_mul_lo_u32 v0, v9, s24
	s_add_i32 s2, s3, s2
	s_mul_i32 s3, s27, s8
	s_add_i32 s3, s2, s3
	s_mul_i32 s2, s26, s8
	s_lshl_b64 s[2:3], s[2:3], 4
	s_lshl_b64 s[10:11], s[22:23], 4
	s_add_u32 s2, s2, s10
	s_addc_u32 s3, s3, s11
	v_ashrrev_i32_e32 v1, 31, v0
	v_lshlrev_b64 v[0:1], 4, v[0:1]
	s_add_u32 s2, s20, s2
	s_addc_u32 s3, s21, s3
	v_mov_b32_e32 v3, s3
	v_add_co_u32_e64 v0, s[2:3], s2, v0
	v_addc_co_u32_e64 v1, s[2:3], v3, v1, s[2:3]
	v_add_co_u32_e64 v4, s[2:3], 8, v0
	v_addc_co_u32_e64 v5, s[2:3], 0, v1, s[2:3]
	s_ashr_i32 s3, s25, 31
	s_mov_b32 s2, s25
	s_lshl_b64 s[10:11], s[2:3], 4
	s_mul_i32 s2, s12, s9
	s_mul_hi_u32 s3, s12, s8
	v_mul_lo_u32 v2, v8, s29
	s_add_i32 s2, s3, s2
	s_mul_i32 s3, s13, s8
	s_add_i32 s3, s2, s3
	s_mul_i32 s2, s12, s8
	s_lshl_b64 s[2:3], s[2:3], 4
	s_lshl_b64 s[12:13], s[38:39], 4
	s_add_u32 s2, s2, s12
	s_addc_u32 s3, s3, s13
	v_ashrrev_i32_e32 v3, 31, v2
	v_lshlrev_b64 v[0:1], 4, v[2:3]
	s_add_u32 s2, s36, s2
	s_addc_u32 s3, s37, s3
	v_mov_b32_e32 v2, s3
	v_add_co_u32_e64 v0, s[2:3], s2, v0
	v_addc_co_u32_e64 v1, s[2:3], v2, v1, s[2:3]
	v_add_co_u32_e64 v6, s[2:3], 8, v0
	s_ashr_i32 s29, s28, 31
	v_addc_co_u32_e64 v7, s[2:3], 0, v1, s[2:3]
	s_lshl_b64 s[12:13], s[28:29], 4
	v_mov_b32_e32 v0, 0
	v_mov_b32_e32 v2, 0
	;; [unrolled: 1-line block ×6, first 2 shown]
.LBB3_3:                                ; =>This Inner Loop Header: Depth=1
	global_load_dwordx4 v[12:15], v[4:5], off offset:-8
	global_load_dwordx4 v[16:19], v[6:7], off offset:-8
	v_add_co_u32_e64 v4, s[2:3], s10, v4
	v_addc_co_u32_e64 v5, s[2:3], v5, v10, s[2:3]
	s_add_i32 s30, s30, -1
	v_add_co_u32_e64 v6, s[2:3], s12, v6
	s_cmp_eq_u32 s30, 0
	v_addc_co_u32_e64 v7, s[2:3], v7, v11, s[2:3]
	s_waitcnt vmcnt(1)
	v_xor_b32_e32 v20, 0x80000000, v15
	s_waitcnt vmcnt(0)
	v_xor_b32_e32 v21, 0x80000000, v19
	v_cndmask_b32_e32 v15, v15, v20, vcc
	v_cndmask_b32_e64 v19, v19, v21, s[0:1]
	v_mul_f64 v[20:21], v[14:15], v[18:19]
	v_mul_f64 v[14:15], v[14:15], v[16:17]
	v_fma_f64 v[20:21], v[12:13], v[16:17], -v[20:21]
	v_fma_f64 v[12:13], v[12:13], v[18:19], v[14:15]
	v_add_f64 v[2:3], v[2:3], v[20:21]
	v_add_f64 v[0:1], v[0:1], v[12:13]
	s_cbranch_scc0 .LBB3_3
	s_branch .LBB3_5
.LBB3_4:
	v_mov_b32_e32 v0, 0
	v_mov_b32_e32 v2, 0
	;; [unrolled: 1-line block ×4, first 2 shown]
.LBB3_5:
	s_load_dwordx4 s[0:3], s[4:5], 0x10
	s_load_dwordx4 s[20:23], s[4:5], 0x90
	s_waitcnt lgkmcnt(0)
	v_mul_f64 v[10:11], s[2:3], v[0:1]
	s_mul_i32 s5, s22, s9
	s_mul_hi_u32 s9, s22, s8
	s_mul_i32 s10, s23, s8
	v_mul_lo_u32 v4, v9, s20
	s_add_i32 s5, s9, s5
	s_mul_i32 s4, s22, s8
	s_add_i32 s5, s5, s10
	s_lshl_b64 s[4:5], s[4:5], 4
	s_add_u32 s8, s18, s4
	s_addc_u32 s9, s19, s5
	v_mad_u64_u32 v[4:5], s[4:5], v8, s21, v[4:5]
	s_lshl_b64 s[4:5], s[6:7], 4
	s_add_u32 s4, s8, s4
	v_ashrrev_i32_e32 v5, 31, v4
	v_lshlrev_b64 v[4:5], 4, v[4:5]
	s_addc_u32 s5, s9, s5
	v_mov_b32_e32 v6, s5
	v_add_co_u32_e32 v8, vcc, s4, v4
	v_addc_co_u32_e32 v9, vcc, v6, v5, vcc
	global_load_dwordx4 v[4:7], v[8:9], off
	v_mul_f64 v[0:1], s[0:1], v[0:1]
	v_fma_f64 v[10:11], s[0:1], v[2:3], -v[10:11]
	v_fma_f64 v[2:3], s[2:3], v[2:3], v[0:1]
	s_waitcnt vmcnt(0)
	v_mul_f64 v[12:13], s[16:17], v[6:7]
	v_mul_f64 v[6:7], s[14:15], v[6:7]
	v_fma_f64 v[0:1], s[14:15], v[4:5], -v[12:13]
	v_fma_f64 v[4:5], s[16:17], v[4:5], v[6:7]
	v_add_f64 v[0:1], v[10:11], v[0:1]
	v_add_f64 v[2:3], v[2:3], v[4:5]
	global_store_dwordx4 v[8:9], v[0:3], off
.LBB3_6:
	s_endpgm
	.section	.rodata,"a",@progbits
	.p2align	6, 0x0
	.amdhsa_kernel _ZN9rocsolver6v33100L11gemm_kernelI19rocblas_complex_numIdEiS3_PS3_S4_S4_EEvT0_S5_S5_T1_bT2_lS5_S5_lbT3_lS5_S5_lS6_T4_lS5_S5_l
		.amdhsa_group_segment_fixed_size 0
		.amdhsa_private_segment_fixed_size 0
		.amdhsa_kernarg_size 416
		.amdhsa_user_sgpr_count 6
		.amdhsa_user_sgpr_private_segment_buffer 1
		.amdhsa_user_sgpr_dispatch_ptr 0
		.amdhsa_user_sgpr_queue_ptr 0
		.amdhsa_user_sgpr_kernarg_segment_ptr 1
		.amdhsa_user_sgpr_dispatch_id 0
		.amdhsa_user_sgpr_flat_scratch_init 0
		.amdhsa_user_sgpr_private_segment_size 0
		.amdhsa_uses_dynamic_stack 0
		.amdhsa_system_sgpr_private_segment_wavefront_offset 0
		.amdhsa_system_sgpr_workgroup_id_x 1
		.amdhsa_system_sgpr_workgroup_id_y 1
		.amdhsa_system_sgpr_workgroup_id_z 1
		.amdhsa_system_sgpr_workgroup_info 0
		.amdhsa_system_vgpr_workitem_id 1
		.amdhsa_next_free_vgpr 22
		.amdhsa_next_free_sgpr 40
		.amdhsa_reserve_vcc 1
		.amdhsa_reserve_flat_scratch 0
		.amdhsa_float_round_mode_32 0
		.amdhsa_float_round_mode_16_64 0
		.amdhsa_float_denorm_mode_32 3
		.amdhsa_float_denorm_mode_16_64 3
		.amdhsa_dx10_clamp 1
		.amdhsa_ieee_mode 1
		.amdhsa_fp16_overflow 0
		.amdhsa_exception_fp_ieee_invalid_op 0
		.amdhsa_exception_fp_denorm_src 0
		.amdhsa_exception_fp_ieee_div_zero 0
		.amdhsa_exception_fp_ieee_overflow 0
		.amdhsa_exception_fp_ieee_underflow 0
		.amdhsa_exception_fp_ieee_inexact 0
		.amdhsa_exception_int_div_zero 0
	.end_amdhsa_kernel
	.section	.text._ZN9rocsolver6v33100L11gemm_kernelI19rocblas_complex_numIdEiS3_PS3_S4_S4_EEvT0_S5_S5_T1_bT2_lS5_S5_lbT3_lS5_S5_lS6_T4_lS5_S5_l,"axG",@progbits,_ZN9rocsolver6v33100L11gemm_kernelI19rocblas_complex_numIdEiS3_PS3_S4_S4_EEvT0_S5_S5_T1_bT2_lS5_S5_lbT3_lS5_S5_lS6_T4_lS5_S5_l,comdat
.Lfunc_end3:
	.size	_ZN9rocsolver6v33100L11gemm_kernelI19rocblas_complex_numIdEiS3_PS3_S4_S4_EEvT0_S5_S5_T1_bT2_lS5_S5_lbT3_lS5_S5_lS6_T4_lS5_S5_l, .Lfunc_end3-_ZN9rocsolver6v33100L11gemm_kernelI19rocblas_complex_numIdEiS3_PS3_S4_S4_EEvT0_S5_S5_T1_bT2_lS5_S5_lbT3_lS5_S5_lS6_T4_lS5_S5_l
                                        ; -- End function
	.set _ZN9rocsolver6v33100L11gemm_kernelI19rocblas_complex_numIdEiS3_PS3_S4_S4_EEvT0_S5_S5_T1_bT2_lS5_S5_lbT3_lS5_S5_lS6_T4_lS5_S5_l.num_vgpr, 22
	.set _ZN9rocsolver6v33100L11gemm_kernelI19rocblas_complex_numIdEiS3_PS3_S4_S4_EEvT0_S5_S5_T1_bT2_lS5_S5_lbT3_lS5_S5_lS6_T4_lS5_S5_l.num_agpr, 0
	.set _ZN9rocsolver6v33100L11gemm_kernelI19rocblas_complex_numIdEiS3_PS3_S4_S4_EEvT0_S5_S5_T1_bT2_lS5_S5_lbT3_lS5_S5_lS6_T4_lS5_S5_l.numbered_sgpr, 40
	.set _ZN9rocsolver6v33100L11gemm_kernelI19rocblas_complex_numIdEiS3_PS3_S4_S4_EEvT0_S5_S5_T1_bT2_lS5_S5_lbT3_lS5_S5_lS6_T4_lS5_S5_l.num_named_barrier, 0
	.set _ZN9rocsolver6v33100L11gemm_kernelI19rocblas_complex_numIdEiS3_PS3_S4_S4_EEvT0_S5_S5_T1_bT2_lS5_S5_lbT3_lS5_S5_lS6_T4_lS5_S5_l.private_seg_size, 0
	.set _ZN9rocsolver6v33100L11gemm_kernelI19rocblas_complex_numIdEiS3_PS3_S4_S4_EEvT0_S5_S5_T1_bT2_lS5_S5_lbT3_lS5_S5_lS6_T4_lS5_S5_l.uses_vcc, 1
	.set _ZN9rocsolver6v33100L11gemm_kernelI19rocblas_complex_numIdEiS3_PS3_S4_S4_EEvT0_S5_S5_T1_bT2_lS5_S5_lbT3_lS5_S5_lS6_T4_lS5_S5_l.uses_flat_scratch, 0
	.set _ZN9rocsolver6v33100L11gemm_kernelI19rocblas_complex_numIdEiS3_PS3_S4_S4_EEvT0_S5_S5_T1_bT2_lS5_S5_lbT3_lS5_S5_lS6_T4_lS5_S5_l.has_dyn_sized_stack, 0
	.set _ZN9rocsolver6v33100L11gemm_kernelI19rocblas_complex_numIdEiS3_PS3_S4_S4_EEvT0_S5_S5_T1_bT2_lS5_S5_lbT3_lS5_S5_lS6_T4_lS5_S5_l.has_recursion, 0
	.set _ZN9rocsolver6v33100L11gemm_kernelI19rocblas_complex_numIdEiS3_PS3_S4_S4_EEvT0_S5_S5_T1_bT2_lS5_S5_lbT3_lS5_S5_lS6_T4_lS5_S5_l.has_indirect_call, 0
	.section	.AMDGPU.csdata,"",@progbits
; Kernel info:
; codeLenInByte = 788
; TotalNumSgprs: 44
; NumVgprs: 22
; ScratchSize: 0
; MemoryBound: 0
; FloatMode: 240
; IeeeMode: 1
; LDSByteSize: 0 bytes/workgroup (compile time only)
; SGPRBlocks: 5
; VGPRBlocks: 5
; NumSGPRsForWavesPerEU: 44
; NumVGPRsForWavesPerEU: 22
; Occupancy: 10
; WaveLimiterHint : 1
; COMPUTE_PGM_RSRC2:SCRATCH_EN: 0
; COMPUTE_PGM_RSRC2:USER_SGPR: 6
; COMPUTE_PGM_RSRC2:TRAP_HANDLER: 0
; COMPUTE_PGM_RSRC2:TGID_X_EN: 1
; COMPUTE_PGM_RSRC2:TGID_Y_EN: 1
; COMPUTE_PGM_RSRC2:TGID_Z_EN: 1
; COMPUTE_PGM_RSRC2:TIDIG_COMP_CNT: 1
	.section	.text._ZN9rocsolver6v33100L16mfma_gemm_kernelI19rocblas_complex_numIdEiPKS3_PKPS3_S8_S8_EEv18rocblas_operation_S9_T0_SA_SA_T1_T2_lSA_SA_lT3_lSA_SA_lSB_T4_lSA_SA_l,"axG",@progbits,_ZN9rocsolver6v33100L16mfma_gemm_kernelI19rocblas_complex_numIdEiPKS3_PKPS3_S8_S8_EEv18rocblas_operation_S9_T0_SA_SA_T1_T2_lSA_SA_lT3_lSA_SA_lSB_T4_lSA_SA_l,comdat
	.globl	_ZN9rocsolver6v33100L16mfma_gemm_kernelI19rocblas_complex_numIdEiPKS3_PKPS3_S8_S8_EEv18rocblas_operation_S9_T0_SA_SA_T1_T2_lSA_SA_lT3_lSA_SA_lSB_T4_lSA_SA_l ; -- Begin function _ZN9rocsolver6v33100L16mfma_gemm_kernelI19rocblas_complex_numIdEiPKS3_PKPS3_S8_S8_EEv18rocblas_operation_S9_T0_SA_SA_T1_T2_lSA_SA_lT3_lSA_SA_lSB_T4_lSA_SA_l
	.p2align	8
	.type	_ZN9rocsolver6v33100L16mfma_gemm_kernelI19rocblas_complex_numIdEiPKS3_PKPS3_S8_S8_EEv18rocblas_operation_S9_T0_SA_SA_T1_T2_lSA_SA_lT3_lSA_SA_lSB_T4_lSA_SA_l,@function
_ZN9rocsolver6v33100L16mfma_gemm_kernelI19rocblas_complex_numIdEiPKS3_PKPS3_S8_S8_EEv18rocblas_operation_S9_T0_SA_SA_T1_T2_lSA_SA_lT3_lSA_SA_lSB_T4_lSA_SA_l: ; @_ZN9rocsolver6v33100L16mfma_gemm_kernelI19rocblas_complex_numIdEiPKS3_PKPS3_S8_S8_EEv18rocblas_operation_S9_T0_SA_SA_T1_T2_lSA_SA_lT3_lSA_SA_lSB_T4_lSA_SA_l
; %bb.0:
	s_endpgm
	.section	.rodata,"a",@progbits
	.p2align	6, 0x0
	.amdhsa_kernel _ZN9rocsolver6v33100L16mfma_gemm_kernelI19rocblas_complex_numIdEiPKS3_PKPS3_S8_S8_EEv18rocblas_operation_S9_T0_SA_SA_T1_T2_lSA_SA_lT3_lSA_SA_lSB_T4_lSA_SA_l
		.amdhsa_group_segment_fixed_size 0
		.amdhsa_private_segment_fixed_size 0
		.amdhsa_kernarg_size 136
		.amdhsa_user_sgpr_count 6
		.amdhsa_user_sgpr_private_segment_buffer 1
		.amdhsa_user_sgpr_dispatch_ptr 0
		.amdhsa_user_sgpr_queue_ptr 0
		.amdhsa_user_sgpr_kernarg_segment_ptr 1
		.amdhsa_user_sgpr_dispatch_id 0
		.amdhsa_user_sgpr_flat_scratch_init 0
		.amdhsa_user_sgpr_private_segment_size 0
		.amdhsa_uses_dynamic_stack 0
		.amdhsa_system_sgpr_private_segment_wavefront_offset 0
		.amdhsa_system_sgpr_workgroup_id_x 1
		.amdhsa_system_sgpr_workgroup_id_y 0
		.amdhsa_system_sgpr_workgroup_id_z 0
		.amdhsa_system_sgpr_workgroup_info 0
		.amdhsa_system_vgpr_workitem_id 0
		.amdhsa_next_free_vgpr 1
		.amdhsa_next_free_sgpr 0
		.amdhsa_reserve_vcc 0
		.amdhsa_reserve_flat_scratch 0
		.amdhsa_float_round_mode_32 0
		.amdhsa_float_round_mode_16_64 0
		.amdhsa_float_denorm_mode_32 3
		.amdhsa_float_denorm_mode_16_64 3
		.amdhsa_dx10_clamp 1
		.amdhsa_ieee_mode 1
		.amdhsa_fp16_overflow 0
		.amdhsa_exception_fp_ieee_invalid_op 0
		.amdhsa_exception_fp_denorm_src 0
		.amdhsa_exception_fp_ieee_div_zero 0
		.amdhsa_exception_fp_ieee_overflow 0
		.amdhsa_exception_fp_ieee_underflow 0
		.amdhsa_exception_fp_ieee_inexact 0
		.amdhsa_exception_int_div_zero 0
	.end_amdhsa_kernel
	.section	.text._ZN9rocsolver6v33100L16mfma_gemm_kernelI19rocblas_complex_numIdEiPKS3_PKPS3_S8_S8_EEv18rocblas_operation_S9_T0_SA_SA_T1_T2_lSA_SA_lT3_lSA_SA_lSB_T4_lSA_SA_l,"axG",@progbits,_ZN9rocsolver6v33100L16mfma_gemm_kernelI19rocblas_complex_numIdEiPKS3_PKPS3_S8_S8_EEv18rocblas_operation_S9_T0_SA_SA_T1_T2_lSA_SA_lT3_lSA_SA_lSB_T4_lSA_SA_l,comdat
.Lfunc_end4:
	.size	_ZN9rocsolver6v33100L16mfma_gemm_kernelI19rocblas_complex_numIdEiPKS3_PKPS3_S8_S8_EEv18rocblas_operation_S9_T0_SA_SA_T1_T2_lSA_SA_lT3_lSA_SA_lSB_T4_lSA_SA_l, .Lfunc_end4-_ZN9rocsolver6v33100L16mfma_gemm_kernelI19rocblas_complex_numIdEiPKS3_PKPS3_S8_S8_EEv18rocblas_operation_S9_T0_SA_SA_T1_T2_lSA_SA_lT3_lSA_SA_lSB_T4_lSA_SA_l
                                        ; -- End function
	.set _ZN9rocsolver6v33100L16mfma_gemm_kernelI19rocblas_complex_numIdEiPKS3_PKPS3_S8_S8_EEv18rocblas_operation_S9_T0_SA_SA_T1_T2_lSA_SA_lT3_lSA_SA_lSB_T4_lSA_SA_l.num_vgpr, 0
	.set _ZN9rocsolver6v33100L16mfma_gemm_kernelI19rocblas_complex_numIdEiPKS3_PKPS3_S8_S8_EEv18rocblas_operation_S9_T0_SA_SA_T1_T2_lSA_SA_lT3_lSA_SA_lSB_T4_lSA_SA_l.num_agpr, 0
	.set _ZN9rocsolver6v33100L16mfma_gemm_kernelI19rocblas_complex_numIdEiPKS3_PKPS3_S8_S8_EEv18rocblas_operation_S9_T0_SA_SA_T1_T2_lSA_SA_lT3_lSA_SA_lSB_T4_lSA_SA_l.numbered_sgpr, 0
	.set _ZN9rocsolver6v33100L16mfma_gemm_kernelI19rocblas_complex_numIdEiPKS3_PKPS3_S8_S8_EEv18rocblas_operation_S9_T0_SA_SA_T1_T2_lSA_SA_lT3_lSA_SA_lSB_T4_lSA_SA_l.num_named_barrier, 0
	.set _ZN9rocsolver6v33100L16mfma_gemm_kernelI19rocblas_complex_numIdEiPKS3_PKPS3_S8_S8_EEv18rocblas_operation_S9_T0_SA_SA_T1_T2_lSA_SA_lT3_lSA_SA_lSB_T4_lSA_SA_l.private_seg_size, 0
	.set _ZN9rocsolver6v33100L16mfma_gemm_kernelI19rocblas_complex_numIdEiPKS3_PKPS3_S8_S8_EEv18rocblas_operation_S9_T0_SA_SA_T1_T2_lSA_SA_lT3_lSA_SA_lSB_T4_lSA_SA_l.uses_vcc, 0
	.set _ZN9rocsolver6v33100L16mfma_gemm_kernelI19rocblas_complex_numIdEiPKS3_PKPS3_S8_S8_EEv18rocblas_operation_S9_T0_SA_SA_T1_T2_lSA_SA_lT3_lSA_SA_lSB_T4_lSA_SA_l.uses_flat_scratch, 0
	.set _ZN9rocsolver6v33100L16mfma_gemm_kernelI19rocblas_complex_numIdEiPKS3_PKPS3_S8_S8_EEv18rocblas_operation_S9_T0_SA_SA_T1_T2_lSA_SA_lT3_lSA_SA_lSB_T4_lSA_SA_l.has_dyn_sized_stack, 0
	.set _ZN9rocsolver6v33100L16mfma_gemm_kernelI19rocblas_complex_numIdEiPKS3_PKPS3_S8_S8_EEv18rocblas_operation_S9_T0_SA_SA_T1_T2_lSA_SA_lT3_lSA_SA_lSB_T4_lSA_SA_l.has_recursion, 0
	.set _ZN9rocsolver6v33100L16mfma_gemm_kernelI19rocblas_complex_numIdEiPKS3_PKPS3_S8_S8_EEv18rocblas_operation_S9_T0_SA_SA_T1_T2_lSA_SA_lT3_lSA_SA_lSB_T4_lSA_SA_l.has_indirect_call, 0
	.section	.AMDGPU.csdata,"",@progbits
; Kernel info:
; codeLenInByte = 4
; TotalNumSgprs: 4
; NumVgprs: 0
; ScratchSize: 0
; MemoryBound: 0
; FloatMode: 240
; IeeeMode: 1
; LDSByteSize: 0 bytes/workgroup (compile time only)
; SGPRBlocks: 0
; VGPRBlocks: 0
; NumSGPRsForWavesPerEU: 4
; NumVGPRsForWavesPerEU: 1
; Occupancy: 10
; WaveLimiterHint : 0
; COMPUTE_PGM_RSRC2:SCRATCH_EN: 0
; COMPUTE_PGM_RSRC2:USER_SGPR: 6
; COMPUTE_PGM_RSRC2:TRAP_HANDLER: 0
; COMPUTE_PGM_RSRC2:TGID_X_EN: 1
; COMPUTE_PGM_RSRC2:TGID_Y_EN: 0
; COMPUTE_PGM_RSRC2:TGID_Z_EN: 0
; COMPUTE_PGM_RSRC2:TIDIG_COMP_CNT: 0
	.section	.text._ZN9rocsolver6v33100L16mfma_gemm_kernelI19rocblas_complex_numIdEiS3_PKPS3_S6_S6_EEv18rocblas_operation_S7_T0_S8_S8_T1_T2_lS8_S8_lT3_lS8_S8_lS9_T4_lS8_S8_l,"axG",@progbits,_ZN9rocsolver6v33100L16mfma_gemm_kernelI19rocblas_complex_numIdEiS3_PKPS3_S6_S6_EEv18rocblas_operation_S7_T0_S8_S8_T1_T2_lS8_S8_lT3_lS8_S8_lS9_T4_lS8_S8_l,comdat
	.globl	_ZN9rocsolver6v33100L16mfma_gemm_kernelI19rocblas_complex_numIdEiS3_PKPS3_S6_S6_EEv18rocblas_operation_S7_T0_S8_S8_T1_T2_lS8_S8_lT3_lS8_S8_lS9_T4_lS8_S8_l ; -- Begin function _ZN9rocsolver6v33100L16mfma_gemm_kernelI19rocblas_complex_numIdEiS3_PKPS3_S6_S6_EEv18rocblas_operation_S7_T0_S8_S8_T1_T2_lS8_S8_lT3_lS8_S8_lS9_T4_lS8_S8_l
	.p2align	8
	.type	_ZN9rocsolver6v33100L16mfma_gemm_kernelI19rocblas_complex_numIdEiS3_PKPS3_S6_S6_EEv18rocblas_operation_S7_T0_S8_S8_T1_T2_lS8_S8_lT3_lS8_S8_lS9_T4_lS8_S8_l,@function
_ZN9rocsolver6v33100L16mfma_gemm_kernelI19rocblas_complex_numIdEiS3_PKPS3_S6_S6_EEv18rocblas_operation_S7_T0_S8_S8_T1_T2_lS8_S8_lT3_lS8_S8_lS9_T4_lS8_S8_l: ; @_ZN9rocsolver6v33100L16mfma_gemm_kernelI19rocblas_complex_numIdEiS3_PKPS3_S6_S6_EEv18rocblas_operation_S7_T0_S8_S8_T1_T2_lS8_S8_lT3_lS8_S8_lS9_T4_lS8_S8_l
; %bb.0:
	s_endpgm
	.section	.rodata,"a",@progbits
	.p2align	6, 0x0
	.amdhsa_kernel _ZN9rocsolver6v33100L16mfma_gemm_kernelI19rocblas_complex_numIdEiS3_PKPS3_S6_S6_EEv18rocblas_operation_S7_T0_S8_S8_T1_T2_lS8_S8_lT3_lS8_S8_lS9_T4_lS8_S8_l
		.amdhsa_group_segment_fixed_size 0
		.amdhsa_private_segment_fixed_size 0
		.amdhsa_kernarg_size 152
		.amdhsa_user_sgpr_count 6
		.amdhsa_user_sgpr_private_segment_buffer 1
		.amdhsa_user_sgpr_dispatch_ptr 0
		.amdhsa_user_sgpr_queue_ptr 0
		.amdhsa_user_sgpr_kernarg_segment_ptr 1
		.amdhsa_user_sgpr_dispatch_id 0
		.amdhsa_user_sgpr_flat_scratch_init 0
		.amdhsa_user_sgpr_private_segment_size 0
		.amdhsa_uses_dynamic_stack 0
		.amdhsa_system_sgpr_private_segment_wavefront_offset 0
		.amdhsa_system_sgpr_workgroup_id_x 1
		.amdhsa_system_sgpr_workgroup_id_y 0
		.amdhsa_system_sgpr_workgroup_id_z 0
		.amdhsa_system_sgpr_workgroup_info 0
		.amdhsa_system_vgpr_workitem_id 0
		.amdhsa_next_free_vgpr 1
		.amdhsa_next_free_sgpr 0
		.amdhsa_reserve_vcc 0
		.amdhsa_reserve_flat_scratch 0
		.amdhsa_float_round_mode_32 0
		.amdhsa_float_round_mode_16_64 0
		.amdhsa_float_denorm_mode_32 3
		.amdhsa_float_denorm_mode_16_64 3
		.amdhsa_dx10_clamp 1
		.amdhsa_ieee_mode 1
		.amdhsa_fp16_overflow 0
		.amdhsa_exception_fp_ieee_invalid_op 0
		.amdhsa_exception_fp_denorm_src 0
		.amdhsa_exception_fp_ieee_div_zero 0
		.amdhsa_exception_fp_ieee_overflow 0
		.amdhsa_exception_fp_ieee_underflow 0
		.amdhsa_exception_fp_ieee_inexact 0
		.amdhsa_exception_int_div_zero 0
	.end_amdhsa_kernel
	.section	.text._ZN9rocsolver6v33100L16mfma_gemm_kernelI19rocblas_complex_numIdEiS3_PKPS3_S6_S6_EEv18rocblas_operation_S7_T0_S8_S8_T1_T2_lS8_S8_lT3_lS8_S8_lS9_T4_lS8_S8_l,"axG",@progbits,_ZN9rocsolver6v33100L16mfma_gemm_kernelI19rocblas_complex_numIdEiS3_PKPS3_S6_S6_EEv18rocblas_operation_S7_T0_S8_S8_T1_T2_lS8_S8_lT3_lS8_S8_lS9_T4_lS8_S8_l,comdat
.Lfunc_end5:
	.size	_ZN9rocsolver6v33100L16mfma_gemm_kernelI19rocblas_complex_numIdEiS3_PKPS3_S6_S6_EEv18rocblas_operation_S7_T0_S8_S8_T1_T2_lS8_S8_lT3_lS8_S8_lS9_T4_lS8_S8_l, .Lfunc_end5-_ZN9rocsolver6v33100L16mfma_gemm_kernelI19rocblas_complex_numIdEiS3_PKPS3_S6_S6_EEv18rocblas_operation_S7_T0_S8_S8_T1_T2_lS8_S8_lT3_lS8_S8_lS9_T4_lS8_S8_l
                                        ; -- End function
	.set _ZN9rocsolver6v33100L16mfma_gemm_kernelI19rocblas_complex_numIdEiS3_PKPS3_S6_S6_EEv18rocblas_operation_S7_T0_S8_S8_T1_T2_lS8_S8_lT3_lS8_S8_lS9_T4_lS8_S8_l.num_vgpr, 0
	.set _ZN9rocsolver6v33100L16mfma_gemm_kernelI19rocblas_complex_numIdEiS3_PKPS3_S6_S6_EEv18rocblas_operation_S7_T0_S8_S8_T1_T2_lS8_S8_lT3_lS8_S8_lS9_T4_lS8_S8_l.num_agpr, 0
	.set _ZN9rocsolver6v33100L16mfma_gemm_kernelI19rocblas_complex_numIdEiS3_PKPS3_S6_S6_EEv18rocblas_operation_S7_T0_S8_S8_T1_T2_lS8_S8_lT3_lS8_S8_lS9_T4_lS8_S8_l.numbered_sgpr, 0
	.set _ZN9rocsolver6v33100L16mfma_gemm_kernelI19rocblas_complex_numIdEiS3_PKPS3_S6_S6_EEv18rocblas_operation_S7_T0_S8_S8_T1_T2_lS8_S8_lT3_lS8_S8_lS9_T4_lS8_S8_l.num_named_barrier, 0
	.set _ZN9rocsolver6v33100L16mfma_gemm_kernelI19rocblas_complex_numIdEiS3_PKPS3_S6_S6_EEv18rocblas_operation_S7_T0_S8_S8_T1_T2_lS8_S8_lT3_lS8_S8_lS9_T4_lS8_S8_l.private_seg_size, 0
	.set _ZN9rocsolver6v33100L16mfma_gemm_kernelI19rocblas_complex_numIdEiS3_PKPS3_S6_S6_EEv18rocblas_operation_S7_T0_S8_S8_T1_T2_lS8_S8_lT3_lS8_S8_lS9_T4_lS8_S8_l.uses_vcc, 0
	.set _ZN9rocsolver6v33100L16mfma_gemm_kernelI19rocblas_complex_numIdEiS3_PKPS3_S6_S6_EEv18rocblas_operation_S7_T0_S8_S8_T1_T2_lS8_S8_lT3_lS8_S8_lS9_T4_lS8_S8_l.uses_flat_scratch, 0
	.set _ZN9rocsolver6v33100L16mfma_gemm_kernelI19rocblas_complex_numIdEiS3_PKPS3_S6_S6_EEv18rocblas_operation_S7_T0_S8_S8_T1_T2_lS8_S8_lT3_lS8_S8_lS9_T4_lS8_S8_l.has_dyn_sized_stack, 0
	.set _ZN9rocsolver6v33100L16mfma_gemm_kernelI19rocblas_complex_numIdEiS3_PKPS3_S6_S6_EEv18rocblas_operation_S7_T0_S8_S8_T1_T2_lS8_S8_lT3_lS8_S8_lS9_T4_lS8_S8_l.has_recursion, 0
	.set _ZN9rocsolver6v33100L16mfma_gemm_kernelI19rocblas_complex_numIdEiS3_PKPS3_S6_S6_EEv18rocblas_operation_S7_T0_S8_S8_T1_T2_lS8_S8_lT3_lS8_S8_lS9_T4_lS8_S8_l.has_indirect_call, 0
	.section	.AMDGPU.csdata,"",@progbits
; Kernel info:
; codeLenInByte = 4
; TotalNumSgprs: 4
; NumVgprs: 0
; ScratchSize: 0
; MemoryBound: 0
; FloatMode: 240
; IeeeMode: 1
; LDSByteSize: 0 bytes/workgroup (compile time only)
; SGPRBlocks: 0
; VGPRBlocks: 0
; NumSGPRsForWavesPerEU: 4
; NumVGPRsForWavesPerEU: 1
; Occupancy: 10
; WaveLimiterHint : 0
; COMPUTE_PGM_RSRC2:SCRATCH_EN: 0
; COMPUTE_PGM_RSRC2:USER_SGPR: 6
; COMPUTE_PGM_RSRC2:TRAP_HANDLER: 0
; COMPUTE_PGM_RSRC2:TGID_X_EN: 1
; COMPUTE_PGM_RSRC2:TGID_Y_EN: 0
; COMPUTE_PGM_RSRC2:TGID_Z_EN: 0
; COMPUTE_PGM_RSRC2:TIDIG_COMP_CNT: 0
	.section	.text._ZN9rocsolver6v33100L11gemm_kernelI19rocblas_complex_numIdEiPKS3_PKPS3_S8_S8_EEvT0_S9_S9_T1_bT2_lS9_S9_lbT3_lS9_S9_lSA_T4_lS9_S9_l,"axG",@progbits,_ZN9rocsolver6v33100L11gemm_kernelI19rocblas_complex_numIdEiPKS3_PKPS3_S8_S8_EEvT0_S9_S9_T1_bT2_lS9_S9_lbT3_lS9_S9_lSA_T4_lS9_S9_l,comdat
	.globl	_ZN9rocsolver6v33100L11gemm_kernelI19rocblas_complex_numIdEiPKS3_PKPS3_S8_S8_EEvT0_S9_S9_T1_bT2_lS9_S9_lbT3_lS9_S9_lSA_T4_lS9_S9_l ; -- Begin function _ZN9rocsolver6v33100L11gemm_kernelI19rocblas_complex_numIdEiPKS3_PKPS3_S8_S8_EEvT0_S9_S9_T1_bT2_lS9_S9_lbT3_lS9_S9_lSA_T4_lS9_S9_l
	.p2align	8
	.type	_ZN9rocsolver6v33100L11gemm_kernelI19rocblas_complex_numIdEiPKS3_PKPS3_S8_S8_EEvT0_S9_S9_T1_bT2_lS9_S9_lbT3_lS9_S9_lSA_T4_lS9_S9_l,@function
_ZN9rocsolver6v33100L11gemm_kernelI19rocblas_complex_numIdEiPKS3_PKPS3_S8_S8_EEvT0_S9_S9_T1_bT2_lS9_S9_lbT3_lS9_S9_lSA_T4_lS9_S9_l: ; @_ZN9rocsolver6v33100L11gemm_kernelI19rocblas_complex_numIdEiPKS3_PKPS3_S8_S8_EEvT0_S9_S9_T1_bT2_lS9_S9_lbT3_lS9_S9_lSA_T4_lS9_S9_l
; %bb.0:
	s_load_dword s0, s[4:5], 0x9c
	s_load_dwordx4 s[12:15], s[4:5], 0x0
	s_waitcnt lgkmcnt(0)
	s_lshr_b32 s1, s0, 16
	s_and_b32 s0, s0, 0xffff
	s_mul_i32 s6, s6, s0
	s_mul_i32 s7, s7, s1
	v_add_u32_e32 v9, s6, v0
	v_add_u32_e32 v8, s7, v1
	v_cmp_gt_i32_e32 vcc, s12, v9
	v_cmp_gt_i32_e64 s[0:1], s13, v8
	s_and_b64 s[0:1], vcc, s[0:1]
	s_and_saveexec_b64 s[2:3], s[0:1]
	s_cbranch_execz .LBB6_6
; %bb.1:
	s_load_dwordx4 s[16:19], s[4:5], 0x68
	s_load_dwordx2 s[20:21], s[4:5], 0x10
	s_load_dwordx2 s[6:7], s[4:5], 0x78
	s_ashr_i32 s9, s8, 31
	s_lshl_b64 s[0:1], s[8:9], 3
	s_waitcnt lgkmcnt(0)
	s_add_u32 s2, s18, s0
	s_addc_u32 s3, s19, s1
	s_load_dwordx2 s[12:13], s[2:3], 0x0
	s_cmp_lt_i32 s14, 1
	s_cbranch_scc1 .LBB6_4
; %bb.2:
	s_load_dwordx4 s[8:11], s[4:5], 0x20
	s_load_dword s15, s[4:5], 0x18
	s_load_dwordx2 s[18:19], s[4:5], 0x30
	s_load_dword s28, s[4:5], 0x40
	s_load_dwordx4 s[24:27], s[4:5], 0x48
	s_waitcnt lgkmcnt(0)
	s_add_u32 s2, s8, s0
	s_addc_u32 s3, s9, s1
	s_load_dwordx2 s[22:23], s[2:3], 0x0
	s_load_dwordx2 s[8:9], s[4:5], 0x58
	v_mul_lo_u32 v2, v9, s18
	s_add_u32 s0, s24, s0
	s_addc_u32 s1, s25, s1
	s_load_dwordx2 s[2:3], s[0:1], 0x0
	s_waitcnt lgkmcnt(0)
	v_mul_lo_u32 v0, v8, s9
	s_bitcmp1_b32 s15, 0
	s_cselect_b64 vcc, -1, 0
	s_bitcmp1_b32 s28, 0
	s_cselect_b64 s[0:1], -1, 0
	s_lshl_b64 s[24:25], s[26:27], 4
	v_ashrrev_i32_e32 v1, 31, v0
	v_lshlrev_b64 v[0:1], 4, v[0:1]
	s_add_u32 s2, s2, s24
	s_addc_u32 s3, s3, s25
	v_mov_b32_e32 v3, s3
	v_add_co_u32_e64 v4, s[2:3], s2, v0
	v_addc_co_u32_e64 v5, s[2:3], v3, v1, s[2:3]
	s_ashr_i32 s9, s8, 31
	s_lshl_b64 s[8:9], s[8:9], 4
	s_lshl_b64 s[2:3], s[10:11], 4
	v_ashrrev_i32_e32 v3, 31, v2
	v_lshlrev_b64 v[0:1], 4, v[2:3]
	s_add_u32 s2, s22, s2
	s_addc_u32 s3, s23, s3
	v_mov_b32_e32 v2, s3
	v_add_co_u32_e64 v6, s[2:3], s2, v0
	v_addc_co_u32_e64 v7, s[2:3], v2, v1, s[2:3]
	s_ashr_i32 s3, s19, 31
	s_mov_b32 s2, s19
	s_lshl_b64 s[10:11], s[2:3], 4
	v_mov_b32_e32 v0, 0
	v_mov_b32_e32 v2, 0
	;; [unrolled: 1-line block ×6, first 2 shown]
.LBB6_3:                                ; =>This Inner Loop Header: Depth=1
	flat_load_dwordx4 v[12:15], v[6:7]
	flat_load_dwordx4 v[16:19], v[4:5]
	v_add_co_u32_e64 v4, s[2:3], s8, v4
	v_addc_co_u32_e64 v5, s[2:3], v5, v10, s[2:3]
	s_add_i32 s14, s14, -1
	v_add_co_u32_e64 v6, s[2:3], s10, v6
	s_cmp_eq_u32 s14, 0
	v_addc_co_u32_e64 v7, s[2:3], v7, v11, s[2:3]
	s_waitcnt vmcnt(0) lgkmcnt(0)
	v_xor_b32_e32 v20, 0x80000000, v15
	v_xor_b32_e32 v21, 0x80000000, v19
	v_cndmask_b32_e32 v15, v15, v20, vcc
	v_cndmask_b32_e64 v19, v19, v21, s[0:1]
	v_mul_f64 v[20:21], v[14:15], v[18:19]
	v_mul_f64 v[14:15], v[14:15], v[16:17]
	v_fma_f64 v[20:21], v[12:13], v[16:17], -v[20:21]
	v_fma_f64 v[12:13], v[12:13], v[18:19], v[14:15]
	v_add_f64 v[2:3], v[2:3], v[20:21]
	v_add_f64 v[0:1], v[0:1], v[12:13]
	s_cbranch_scc0 .LBB6_3
	s_branch .LBB6_5
.LBB6_4:
	v_mov_b32_e32 v0, 0
	v_mov_b32_e32 v2, 0
	;; [unrolled: 1-line block ×4, first 2 shown]
.LBB6_5:
	s_load_dwordx4 s[8:11], s[20:21], 0x0
	s_load_dwordx4 s[0:3], s[16:17], 0x0
                                        ; kill: killed $sgpr20_sgpr21
                                        ; kill: killed $sgpr16_sgpr17
	s_nop 0
	s_load_dwordx2 s[4:5], s[4:5], 0x80
	s_lshl_b64 s[6:7], s[6:7], 4
	s_waitcnt lgkmcnt(0)
	v_mul_f64 v[10:11], s[10:11], v[0:1]
	v_mul_f64 v[0:1], s[8:9], v[0:1]
	v_mul_lo_u32 v4, v9, s4
	v_mad_u64_u32 v[4:5], s[4:5], v8, s5, v[4:5]
	s_add_u32 s4, s12, s6
	s_addc_u32 s5, s13, s7
	v_ashrrev_i32_e32 v5, 31, v4
	v_lshlrev_b64 v[4:5], 4, v[4:5]
	v_mov_b32_e32 v6, s5
	v_add_co_u32_e32 v8, vcc, s4, v4
	v_addc_co_u32_e32 v9, vcc, v6, v5, vcc
	flat_load_dwordx4 v[4:7], v[8:9]
	v_fma_f64 v[10:11], s[8:9], v[2:3], -v[10:11]
	v_fma_f64 v[2:3], s[10:11], v[2:3], v[0:1]
	s_waitcnt vmcnt(0) lgkmcnt(0)
	v_mul_f64 v[12:13], s[2:3], v[6:7]
	v_mul_f64 v[6:7], s[0:1], v[6:7]
	v_fma_f64 v[0:1], s[0:1], v[4:5], -v[12:13]
	v_fma_f64 v[4:5], s[2:3], v[4:5], v[6:7]
	v_add_f64 v[0:1], v[10:11], v[0:1]
	v_add_f64 v[2:3], v[2:3], v[4:5]
	flat_store_dwordx4 v[8:9], v[0:3]
.LBB6_6:
	s_endpgm
	.section	.rodata,"a",@progbits
	.p2align	6, 0x0
	.amdhsa_kernel _ZN9rocsolver6v33100L11gemm_kernelI19rocblas_complex_numIdEiPKS3_PKPS3_S8_S8_EEvT0_S9_S9_T1_bT2_lS9_S9_lbT3_lS9_S9_lSA_T4_lS9_S9_l
		.amdhsa_group_segment_fixed_size 0
		.amdhsa_private_segment_fixed_size 0
		.amdhsa_kernarg_size 400
		.amdhsa_user_sgpr_count 6
		.amdhsa_user_sgpr_private_segment_buffer 1
		.amdhsa_user_sgpr_dispatch_ptr 0
		.amdhsa_user_sgpr_queue_ptr 0
		.amdhsa_user_sgpr_kernarg_segment_ptr 1
		.amdhsa_user_sgpr_dispatch_id 0
		.amdhsa_user_sgpr_flat_scratch_init 0
		.amdhsa_user_sgpr_private_segment_size 0
		.amdhsa_uses_dynamic_stack 0
		.amdhsa_system_sgpr_private_segment_wavefront_offset 0
		.amdhsa_system_sgpr_workgroup_id_x 1
		.amdhsa_system_sgpr_workgroup_id_y 1
		.amdhsa_system_sgpr_workgroup_id_z 1
		.amdhsa_system_sgpr_workgroup_info 0
		.amdhsa_system_vgpr_workitem_id 1
		.amdhsa_next_free_vgpr 22
		.amdhsa_next_free_sgpr 29
		.amdhsa_reserve_vcc 1
		.amdhsa_reserve_flat_scratch 0
		.amdhsa_float_round_mode_32 0
		.amdhsa_float_round_mode_16_64 0
		.amdhsa_float_denorm_mode_32 3
		.amdhsa_float_denorm_mode_16_64 3
		.amdhsa_dx10_clamp 1
		.amdhsa_ieee_mode 1
		.amdhsa_fp16_overflow 0
		.amdhsa_exception_fp_ieee_invalid_op 0
		.amdhsa_exception_fp_denorm_src 0
		.amdhsa_exception_fp_ieee_div_zero 0
		.amdhsa_exception_fp_ieee_overflow 0
		.amdhsa_exception_fp_ieee_underflow 0
		.amdhsa_exception_fp_ieee_inexact 0
		.amdhsa_exception_int_div_zero 0
	.end_amdhsa_kernel
	.section	.text._ZN9rocsolver6v33100L11gemm_kernelI19rocblas_complex_numIdEiPKS3_PKPS3_S8_S8_EEvT0_S9_S9_T1_bT2_lS9_S9_lbT3_lS9_S9_lSA_T4_lS9_S9_l,"axG",@progbits,_ZN9rocsolver6v33100L11gemm_kernelI19rocblas_complex_numIdEiPKS3_PKPS3_S8_S8_EEvT0_S9_S9_T1_bT2_lS9_S9_lbT3_lS9_S9_lSA_T4_lS9_S9_l,comdat
.Lfunc_end6:
	.size	_ZN9rocsolver6v33100L11gemm_kernelI19rocblas_complex_numIdEiPKS3_PKPS3_S8_S8_EEvT0_S9_S9_T1_bT2_lS9_S9_lbT3_lS9_S9_lSA_T4_lS9_S9_l, .Lfunc_end6-_ZN9rocsolver6v33100L11gemm_kernelI19rocblas_complex_numIdEiPKS3_PKPS3_S8_S8_EEvT0_S9_S9_T1_bT2_lS9_S9_lbT3_lS9_S9_lSA_T4_lS9_S9_l
                                        ; -- End function
	.set _ZN9rocsolver6v33100L11gemm_kernelI19rocblas_complex_numIdEiPKS3_PKPS3_S8_S8_EEvT0_S9_S9_T1_bT2_lS9_S9_lbT3_lS9_S9_lSA_T4_lS9_S9_l.num_vgpr, 22
	.set _ZN9rocsolver6v33100L11gemm_kernelI19rocblas_complex_numIdEiPKS3_PKPS3_S8_S8_EEvT0_S9_S9_T1_bT2_lS9_S9_lbT3_lS9_S9_lSA_T4_lS9_S9_l.num_agpr, 0
	.set _ZN9rocsolver6v33100L11gemm_kernelI19rocblas_complex_numIdEiPKS3_PKPS3_S8_S8_EEvT0_S9_S9_T1_bT2_lS9_S9_lbT3_lS9_S9_lSA_T4_lS9_S9_l.numbered_sgpr, 29
	.set _ZN9rocsolver6v33100L11gemm_kernelI19rocblas_complex_numIdEiPKS3_PKPS3_S8_S8_EEvT0_S9_S9_T1_bT2_lS9_S9_lbT3_lS9_S9_lSA_T4_lS9_S9_l.num_named_barrier, 0
	.set _ZN9rocsolver6v33100L11gemm_kernelI19rocblas_complex_numIdEiPKS3_PKPS3_S8_S8_EEvT0_S9_S9_T1_bT2_lS9_S9_lbT3_lS9_S9_lSA_T4_lS9_S9_l.private_seg_size, 0
	.set _ZN9rocsolver6v33100L11gemm_kernelI19rocblas_complex_numIdEiPKS3_PKPS3_S8_S8_EEvT0_S9_S9_T1_bT2_lS9_S9_lbT3_lS9_S9_lSA_T4_lS9_S9_l.uses_vcc, 1
	.set _ZN9rocsolver6v33100L11gemm_kernelI19rocblas_complex_numIdEiPKS3_PKPS3_S8_S8_EEvT0_S9_S9_T1_bT2_lS9_S9_lbT3_lS9_S9_lSA_T4_lS9_S9_l.uses_flat_scratch, 0
	.set _ZN9rocsolver6v33100L11gemm_kernelI19rocblas_complex_numIdEiPKS3_PKPS3_S8_S8_EEvT0_S9_S9_T1_bT2_lS9_S9_lbT3_lS9_S9_lSA_T4_lS9_S9_l.has_dyn_sized_stack, 0
	.set _ZN9rocsolver6v33100L11gemm_kernelI19rocblas_complex_numIdEiPKS3_PKPS3_S8_S8_EEvT0_S9_S9_T1_bT2_lS9_S9_lbT3_lS9_S9_lSA_T4_lS9_S9_l.has_recursion, 0
	.set _ZN9rocsolver6v33100L11gemm_kernelI19rocblas_complex_numIdEiPKS3_PKPS3_S8_S8_EEvT0_S9_S9_T1_bT2_lS9_S9_lbT3_lS9_S9_lSA_T4_lS9_S9_l.has_indirect_call, 0
	.section	.AMDGPU.csdata,"",@progbits
; Kernel info:
; codeLenInByte = 732
; TotalNumSgprs: 33
; NumVgprs: 22
; ScratchSize: 0
; MemoryBound: 0
; FloatMode: 240
; IeeeMode: 1
; LDSByteSize: 0 bytes/workgroup (compile time only)
; SGPRBlocks: 4
; VGPRBlocks: 5
; NumSGPRsForWavesPerEU: 33
; NumVGPRsForWavesPerEU: 22
; Occupancy: 10
; WaveLimiterHint : 1
; COMPUTE_PGM_RSRC2:SCRATCH_EN: 0
; COMPUTE_PGM_RSRC2:USER_SGPR: 6
; COMPUTE_PGM_RSRC2:TRAP_HANDLER: 0
; COMPUTE_PGM_RSRC2:TGID_X_EN: 1
; COMPUTE_PGM_RSRC2:TGID_Y_EN: 1
; COMPUTE_PGM_RSRC2:TGID_Z_EN: 1
; COMPUTE_PGM_RSRC2:TIDIG_COMP_CNT: 1
	.section	.text._ZN9rocsolver6v33100L11gemm_kernelI19rocblas_complex_numIdEiS3_PKPS3_S6_S6_EEvT0_S7_S7_T1_bT2_lS7_S7_lbT3_lS7_S7_lS8_T4_lS7_S7_l,"axG",@progbits,_ZN9rocsolver6v33100L11gemm_kernelI19rocblas_complex_numIdEiS3_PKPS3_S6_S6_EEvT0_S7_S7_T1_bT2_lS7_S7_lbT3_lS7_S7_lS8_T4_lS7_S7_l,comdat
	.globl	_ZN9rocsolver6v33100L11gemm_kernelI19rocblas_complex_numIdEiS3_PKPS3_S6_S6_EEvT0_S7_S7_T1_bT2_lS7_S7_lbT3_lS7_S7_lS8_T4_lS7_S7_l ; -- Begin function _ZN9rocsolver6v33100L11gemm_kernelI19rocblas_complex_numIdEiS3_PKPS3_S6_S6_EEvT0_S7_S7_T1_bT2_lS7_S7_lbT3_lS7_S7_lS8_T4_lS7_S7_l
	.p2align	8
	.type	_ZN9rocsolver6v33100L11gemm_kernelI19rocblas_complex_numIdEiS3_PKPS3_S6_S6_EEvT0_S7_S7_T1_bT2_lS7_S7_lbT3_lS7_S7_lS8_T4_lS7_S7_l,@function
_ZN9rocsolver6v33100L11gemm_kernelI19rocblas_complex_numIdEiS3_PKPS3_S6_S6_EEvT0_S7_S7_T1_bT2_lS7_S7_lbT3_lS7_S7_lS8_T4_lS7_S7_l: ; @_ZN9rocsolver6v33100L11gemm_kernelI19rocblas_complex_numIdEiS3_PKPS3_S6_S6_EEvT0_S7_S7_T1_bT2_lS7_S7_lbT3_lS7_S7_lS8_T4_lS7_S7_l
; %bb.0:
	s_load_dword s0, s[4:5], 0xac
	s_load_dwordx4 s[20:23], s[4:5], 0x0
	s_waitcnt lgkmcnt(0)
	s_lshr_b32 s1, s0, 16
	s_and_b32 s0, s0, 0xffff
	s_mul_i32 s6, s6, s0
	s_mul_i32 s7, s7, s1
	v_add_u32_e32 v9, s6, v0
	v_add_u32_e32 v8, s7, v1
	v_cmp_gt_i32_e32 vcc, s20, v9
	v_cmp_gt_i32_e64 s[0:1], s21, v8
	s_and_b64 s[0:1], vcc, s[0:1]
	s_and_saveexec_b64 s[2:3], s[0:1]
	s_cbranch_execz .LBB7_6
; %bb.1:
	s_load_dwordx8 s[12:19], s[4:5], 0x70
	s_ashr_i32 s9, s8, 31
	s_lshl_b64 s[0:1], s[8:9], 3
	s_waitcnt lgkmcnt(0)
	s_add_u32 s2, s16, s0
	s_addc_u32 s3, s17, s1
	s_load_dwordx2 s[6:7], s[2:3], 0x0
	s_cmp_lt_i32 s22, 1
	s_cbranch_scc1 .LBB7_4
; %bb.2:
	s_load_dwordx4 s[8:11], s[4:5], 0x28
	s_load_dword s23, s[4:5], 0x20
	s_load_dwordx2 s[16:17], s[4:5], 0x38
	s_load_dword s28, s[4:5], 0x48
	s_load_dwordx4 s[24:27], s[4:5], 0x50
	s_waitcnt lgkmcnt(0)
	s_add_u32 s2, s8, s0
	s_addc_u32 s3, s9, s1
	s_load_dwordx2 s[20:21], s[2:3], 0x0
	s_load_dwordx2 s[8:9], s[4:5], 0x60
	v_mul_lo_u32 v2, v9, s16
	s_add_u32 s0, s24, s0
	s_addc_u32 s1, s25, s1
	s_load_dwordx2 s[2:3], s[0:1], 0x0
	s_waitcnt lgkmcnt(0)
	v_mul_lo_u32 v0, v8, s9
	s_bitcmp1_b32 s23, 0
	s_cselect_b64 vcc, -1, 0
	s_bitcmp1_b32 s28, 0
	s_cselect_b64 s[0:1], -1, 0
	s_lshl_b64 s[24:25], s[26:27], 4
	v_ashrrev_i32_e32 v1, 31, v0
	v_lshlrev_b64 v[0:1], 4, v[0:1]
	s_add_u32 s2, s2, s24
	s_addc_u32 s3, s3, s25
	v_mov_b32_e32 v3, s3
	v_add_co_u32_e64 v4, s[2:3], s2, v0
	v_addc_co_u32_e64 v5, s[2:3], v3, v1, s[2:3]
	s_ashr_i32 s9, s8, 31
	s_lshl_b64 s[8:9], s[8:9], 4
	s_lshl_b64 s[2:3], s[10:11], 4
	v_ashrrev_i32_e32 v3, 31, v2
	v_lshlrev_b64 v[0:1], 4, v[2:3]
	s_add_u32 s2, s20, s2
	s_addc_u32 s3, s21, s3
	v_mov_b32_e32 v2, s3
	v_add_co_u32_e64 v6, s[2:3], s2, v0
	v_addc_co_u32_e64 v7, s[2:3], v2, v1, s[2:3]
	s_ashr_i32 s3, s17, 31
	s_mov_b32 s2, s17
	s_lshl_b64 s[10:11], s[2:3], 4
	v_mov_b32_e32 v0, 0
	v_mov_b32_e32 v2, 0
	;; [unrolled: 1-line block ×6, first 2 shown]
.LBB7_3:                                ; =>This Inner Loop Header: Depth=1
	flat_load_dwordx4 v[12:15], v[6:7]
	flat_load_dwordx4 v[16:19], v[4:5]
	v_add_co_u32_e64 v4, s[2:3], s8, v4
	v_addc_co_u32_e64 v5, s[2:3], v5, v10, s[2:3]
	s_add_i32 s22, s22, -1
	v_add_co_u32_e64 v6, s[2:3], s10, v6
	s_cmp_eq_u32 s22, 0
	v_addc_co_u32_e64 v7, s[2:3], v7, v11, s[2:3]
	s_waitcnt vmcnt(0) lgkmcnt(0)
	v_xor_b32_e32 v20, 0x80000000, v15
	v_xor_b32_e32 v21, 0x80000000, v19
	v_cndmask_b32_e32 v15, v15, v20, vcc
	v_cndmask_b32_e64 v19, v19, v21, s[0:1]
	v_mul_f64 v[20:21], v[14:15], v[18:19]
	v_mul_f64 v[14:15], v[14:15], v[16:17]
	v_fma_f64 v[20:21], v[12:13], v[16:17], -v[20:21]
	v_fma_f64 v[12:13], v[12:13], v[18:19], v[14:15]
	v_add_f64 v[2:3], v[2:3], v[20:21]
	v_add_f64 v[0:1], v[0:1], v[12:13]
	s_cbranch_scc0 .LBB7_3
	s_branch .LBB7_5
.LBB7_4:
	v_mov_b32_e32 v0, 0
	v_mov_b32_e32 v2, 0
	;; [unrolled: 1-line block ×4, first 2 shown]
.LBB7_5:
	s_load_dwordx4 s[0:3], s[4:5], 0x10
	s_nop 0
	s_load_dwordx2 s[4:5], s[4:5], 0x90
	s_lshl_b64 s[8:9], s[18:19], 4
	s_waitcnt lgkmcnt(0)
	v_mul_f64 v[10:11], s[2:3], v[0:1]
	v_mul_lo_u32 v4, v9, s4
	v_mul_f64 v[0:1], s[0:1], v[0:1]
	v_mad_u64_u32 v[4:5], s[4:5], v8, s5, v[4:5]
	s_add_u32 s4, s6, s8
	s_addc_u32 s5, s7, s9
	v_ashrrev_i32_e32 v5, 31, v4
	v_lshlrev_b64 v[4:5], 4, v[4:5]
	v_mov_b32_e32 v6, s5
	v_add_co_u32_e32 v8, vcc, s4, v4
	v_addc_co_u32_e32 v9, vcc, v6, v5, vcc
	flat_load_dwordx4 v[4:7], v[8:9]
	v_fma_f64 v[10:11], s[0:1], v[2:3], -v[10:11]
	v_fma_f64 v[2:3], s[2:3], v[2:3], v[0:1]
	s_waitcnt vmcnt(0) lgkmcnt(0)
	v_mul_f64 v[12:13], s[14:15], v[6:7]
	v_mul_f64 v[6:7], s[12:13], v[6:7]
	v_fma_f64 v[0:1], s[12:13], v[4:5], -v[12:13]
	v_fma_f64 v[4:5], s[14:15], v[4:5], v[6:7]
	v_add_f64 v[0:1], v[10:11], v[0:1]
	v_add_f64 v[2:3], v[2:3], v[4:5]
	flat_store_dwordx4 v[8:9], v[0:3]
.LBB7_6:
	s_endpgm
	.section	.rodata,"a",@progbits
	.p2align	6, 0x0
	.amdhsa_kernel _ZN9rocsolver6v33100L11gemm_kernelI19rocblas_complex_numIdEiS3_PKPS3_S6_S6_EEvT0_S7_S7_T1_bT2_lS7_S7_lbT3_lS7_S7_lS8_T4_lS7_S7_l
		.amdhsa_group_segment_fixed_size 0
		.amdhsa_private_segment_fixed_size 0
		.amdhsa_kernarg_size 416
		.amdhsa_user_sgpr_count 6
		.amdhsa_user_sgpr_private_segment_buffer 1
		.amdhsa_user_sgpr_dispatch_ptr 0
		.amdhsa_user_sgpr_queue_ptr 0
		.amdhsa_user_sgpr_kernarg_segment_ptr 1
		.amdhsa_user_sgpr_dispatch_id 0
		.amdhsa_user_sgpr_flat_scratch_init 0
		.amdhsa_user_sgpr_private_segment_size 0
		.amdhsa_uses_dynamic_stack 0
		.amdhsa_system_sgpr_private_segment_wavefront_offset 0
		.amdhsa_system_sgpr_workgroup_id_x 1
		.amdhsa_system_sgpr_workgroup_id_y 1
		.amdhsa_system_sgpr_workgroup_id_z 1
		.amdhsa_system_sgpr_workgroup_info 0
		.amdhsa_system_vgpr_workitem_id 1
		.amdhsa_next_free_vgpr 22
		.amdhsa_next_free_sgpr 29
		.amdhsa_reserve_vcc 1
		.amdhsa_reserve_flat_scratch 0
		.amdhsa_float_round_mode_32 0
		.amdhsa_float_round_mode_16_64 0
		.amdhsa_float_denorm_mode_32 3
		.amdhsa_float_denorm_mode_16_64 3
		.amdhsa_dx10_clamp 1
		.amdhsa_ieee_mode 1
		.amdhsa_fp16_overflow 0
		.amdhsa_exception_fp_ieee_invalid_op 0
		.amdhsa_exception_fp_denorm_src 0
		.amdhsa_exception_fp_ieee_div_zero 0
		.amdhsa_exception_fp_ieee_overflow 0
		.amdhsa_exception_fp_ieee_underflow 0
		.amdhsa_exception_fp_ieee_inexact 0
		.amdhsa_exception_int_div_zero 0
	.end_amdhsa_kernel
	.section	.text._ZN9rocsolver6v33100L11gemm_kernelI19rocblas_complex_numIdEiS3_PKPS3_S6_S6_EEvT0_S7_S7_T1_bT2_lS7_S7_lbT3_lS7_S7_lS8_T4_lS7_S7_l,"axG",@progbits,_ZN9rocsolver6v33100L11gemm_kernelI19rocblas_complex_numIdEiS3_PKPS3_S6_S6_EEvT0_S7_S7_T1_bT2_lS7_S7_lbT3_lS7_S7_lS8_T4_lS7_S7_l,comdat
.Lfunc_end7:
	.size	_ZN9rocsolver6v33100L11gemm_kernelI19rocblas_complex_numIdEiS3_PKPS3_S6_S6_EEvT0_S7_S7_T1_bT2_lS7_S7_lbT3_lS7_S7_lS8_T4_lS7_S7_l, .Lfunc_end7-_ZN9rocsolver6v33100L11gemm_kernelI19rocblas_complex_numIdEiS3_PKPS3_S6_S6_EEvT0_S7_S7_T1_bT2_lS7_S7_lbT3_lS7_S7_lS8_T4_lS7_S7_l
                                        ; -- End function
	.set _ZN9rocsolver6v33100L11gemm_kernelI19rocblas_complex_numIdEiS3_PKPS3_S6_S6_EEvT0_S7_S7_T1_bT2_lS7_S7_lbT3_lS7_S7_lS8_T4_lS7_S7_l.num_vgpr, 22
	.set _ZN9rocsolver6v33100L11gemm_kernelI19rocblas_complex_numIdEiS3_PKPS3_S6_S6_EEvT0_S7_S7_T1_bT2_lS7_S7_lbT3_lS7_S7_lS8_T4_lS7_S7_l.num_agpr, 0
	.set _ZN9rocsolver6v33100L11gemm_kernelI19rocblas_complex_numIdEiS3_PKPS3_S6_S6_EEvT0_S7_S7_T1_bT2_lS7_S7_lbT3_lS7_S7_lS8_T4_lS7_S7_l.numbered_sgpr, 29
	.set _ZN9rocsolver6v33100L11gemm_kernelI19rocblas_complex_numIdEiS3_PKPS3_S6_S6_EEvT0_S7_S7_T1_bT2_lS7_S7_lbT3_lS7_S7_lS8_T4_lS7_S7_l.num_named_barrier, 0
	.set _ZN9rocsolver6v33100L11gemm_kernelI19rocblas_complex_numIdEiS3_PKPS3_S6_S6_EEvT0_S7_S7_T1_bT2_lS7_S7_lbT3_lS7_S7_lS8_T4_lS7_S7_l.private_seg_size, 0
	.set _ZN9rocsolver6v33100L11gemm_kernelI19rocblas_complex_numIdEiS3_PKPS3_S6_S6_EEvT0_S7_S7_T1_bT2_lS7_S7_lbT3_lS7_S7_lS8_T4_lS7_S7_l.uses_vcc, 1
	.set _ZN9rocsolver6v33100L11gemm_kernelI19rocblas_complex_numIdEiS3_PKPS3_S6_S6_EEvT0_S7_S7_T1_bT2_lS7_S7_lbT3_lS7_S7_lS8_T4_lS7_S7_l.uses_flat_scratch, 0
	.set _ZN9rocsolver6v33100L11gemm_kernelI19rocblas_complex_numIdEiS3_PKPS3_S6_S6_EEvT0_S7_S7_T1_bT2_lS7_S7_lbT3_lS7_S7_lS8_T4_lS7_S7_l.has_dyn_sized_stack, 0
	.set _ZN9rocsolver6v33100L11gemm_kernelI19rocblas_complex_numIdEiS3_PKPS3_S6_S6_EEvT0_S7_S7_T1_bT2_lS7_S7_lbT3_lS7_S7_lS8_T4_lS7_S7_l.has_recursion, 0
	.set _ZN9rocsolver6v33100L11gemm_kernelI19rocblas_complex_numIdEiS3_PKPS3_S6_S6_EEvT0_S7_S7_T1_bT2_lS7_S7_lbT3_lS7_S7_lS8_T4_lS7_S7_l.has_indirect_call, 0
	.section	.AMDGPU.csdata,"",@progbits
; Kernel info:
; codeLenInByte = 708
; TotalNumSgprs: 33
; NumVgprs: 22
; ScratchSize: 0
; MemoryBound: 0
; FloatMode: 240
; IeeeMode: 1
; LDSByteSize: 0 bytes/workgroup (compile time only)
; SGPRBlocks: 4
; VGPRBlocks: 5
; NumSGPRsForWavesPerEU: 33
; NumVGPRsForWavesPerEU: 22
; Occupancy: 10
; WaveLimiterHint : 1
; COMPUTE_PGM_RSRC2:SCRATCH_EN: 0
; COMPUTE_PGM_RSRC2:USER_SGPR: 6
; COMPUTE_PGM_RSRC2:TRAP_HANDLER: 0
; COMPUTE_PGM_RSRC2:TGID_X_EN: 1
; COMPUTE_PGM_RSRC2:TGID_Y_EN: 1
; COMPUTE_PGM_RSRC2:TGID_Z_EN: 1
; COMPUTE_PGM_RSRC2:TIDIG_COMP_CNT: 1
	.section	.text._ZN9rocsolver6v33100L9get_arrayI19rocblas_complex_numIdEiEEvPPT_S5_lT0_,"axG",@progbits,_ZN9rocsolver6v33100L9get_arrayI19rocblas_complex_numIdEiEEvPPT_S5_lT0_,comdat
	.globl	_ZN9rocsolver6v33100L9get_arrayI19rocblas_complex_numIdEiEEvPPT_S5_lT0_ ; -- Begin function _ZN9rocsolver6v33100L9get_arrayI19rocblas_complex_numIdEiEEvPPT_S5_lT0_
	.p2align	8
	.type	_ZN9rocsolver6v33100L9get_arrayI19rocblas_complex_numIdEiEEvPPT_S5_lT0_,@function
_ZN9rocsolver6v33100L9get_arrayI19rocblas_complex_numIdEiEEvPPT_S5_lT0_: ; @_ZN9rocsolver6v33100L9get_arrayI19rocblas_complex_numIdEiEEvPPT_S5_lT0_
; %bb.0:
	s_load_dword s0, s[4:5], 0x2c
	s_load_dword s1, s[4:5], 0x18
	s_waitcnt lgkmcnt(0)
	s_and_b32 s0, s0, 0xffff
	s_mul_i32 s6, s6, s0
	v_add_u32_e32 v0, s6, v0
	v_cmp_gt_i32_e32 vcc, s1, v0
	s_and_saveexec_b64 s[0:1], vcc
	s_cbranch_execz .LBB8_2
; %bb.1:
	s_load_dwordx2 s[6:7], s[4:5], 0x10
	s_load_dwordx4 s[0:3], s[4:5], 0x0
	v_ashrrev_i32_e32 v1, 31, v0
	s_waitcnt lgkmcnt(0)
	v_mul_lo_u32 v4, s7, v0
	v_mul_lo_u32 v5, s6, v1
	v_mad_u64_u32 v[2:3], s[4:5], s6, v0, 0
	v_mov_b32_e32 v6, s3
	v_lshlrev_b64 v[0:1], 3, v[0:1]
	v_add3_u32 v3, v3, v5, v4
	v_lshlrev_b64 v[2:3], 4, v[2:3]
	v_mov_b32_e32 v4, s1
	v_add_co_u32_e32 v2, vcc, s2, v2
	v_addc_co_u32_e32 v3, vcc, v6, v3, vcc
	v_add_co_u32_e32 v0, vcc, s0, v0
	v_addc_co_u32_e32 v1, vcc, v4, v1, vcc
	global_store_dwordx2 v[0:1], v[2:3], off
.LBB8_2:
	s_endpgm
	.section	.rodata,"a",@progbits
	.p2align	6, 0x0
	.amdhsa_kernel _ZN9rocsolver6v33100L9get_arrayI19rocblas_complex_numIdEiEEvPPT_S5_lT0_
		.amdhsa_group_segment_fixed_size 0
		.amdhsa_private_segment_fixed_size 0
		.amdhsa_kernarg_size 288
		.amdhsa_user_sgpr_count 6
		.amdhsa_user_sgpr_private_segment_buffer 1
		.amdhsa_user_sgpr_dispatch_ptr 0
		.amdhsa_user_sgpr_queue_ptr 0
		.amdhsa_user_sgpr_kernarg_segment_ptr 1
		.amdhsa_user_sgpr_dispatch_id 0
		.amdhsa_user_sgpr_flat_scratch_init 0
		.amdhsa_user_sgpr_private_segment_size 0
		.amdhsa_uses_dynamic_stack 0
		.amdhsa_system_sgpr_private_segment_wavefront_offset 0
		.amdhsa_system_sgpr_workgroup_id_x 1
		.amdhsa_system_sgpr_workgroup_id_y 0
		.amdhsa_system_sgpr_workgroup_id_z 0
		.amdhsa_system_sgpr_workgroup_info 0
		.amdhsa_system_vgpr_workitem_id 0
		.amdhsa_next_free_vgpr 7
		.amdhsa_next_free_sgpr 8
		.amdhsa_reserve_vcc 1
		.amdhsa_reserve_flat_scratch 0
		.amdhsa_float_round_mode_32 0
		.amdhsa_float_round_mode_16_64 0
		.amdhsa_float_denorm_mode_32 3
		.amdhsa_float_denorm_mode_16_64 3
		.amdhsa_dx10_clamp 1
		.amdhsa_ieee_mode 1
		.amdhsa_fp16_overflow 0
		.amdhsa_exception_fp_ieee_invalid_op 0
		.amdhsa_exception_fp_denorm_src 0
		.amdhsa_exception_fp_ieee_div_zero 0
		.amdhsa_exception_fp_ieee_overflow 0
		.amdhsa_exception_fp_ieee_underflow 0
		.amdhsa_exception_fp_ieee_inexact 0
		.amdhsa_exception_int_div_zero 0
	.end_amdhsa_kernel
	.section	.text._ZN9rocsolver6v33100L9get_arrayI19rocblas_complex_numIdEiEEvPPT_S5_lT0_,"axG",@progbits,_ZN9rocsolver6v33100L9get_arrayI19rocblas_complex_numIdEiEEvPPT_S5_lT0_,comdat
.Lfunc_end8:
	.size	_ZN9rocsolver6v33100L9get_arrayI19rocblas_complex_numIdEiEEvPPT_S5_lT0_, .Lfunc_end8-_ZN9rocsolver6v33100L9get_arrayI19rocblas_complex_numIdEiEEvPPT_S5_lT0_
                                        ; -- End function
	.set _ZN9rocsolver6v33100L9get_arrayI19rocblas_complex_numIdEiEEvPPT_S5_lT0_.num_vgpr, 7
	.set _ZN9rocsolver6v33100L9get_arrayI19rocblas_complex_numIdEiEEvPPT_S5_lT0_.num_agpr, 0
	.set _ZN9rocsolver6v33100L9get_arrayI19rocblas_complex_numIdEiEEvPPT_S5_lT0_.numbered_sgpr, 8
	.set _ZN9rocsolver6v33100L9get_arrayI19rocblas_complex_numIdEiEEvPPT_S5_lT0_.num_named_barrier, 0
	.set _ZN9rocsolver6v33100L9get_arrayI19rocblas_complex_numIdEiEEvPPT_S5_lT0_.private_seg_size, 0
	.set _ZN9rocsolver6v33100L9get_arrayI19rocblas_complex_numIdEiEEvPPT_S5_lT0_.uses_vcc, 1
	.set _ZN9rocsolver6v33100L9get_arrayI19rocblas_complex_numIdEiEEvPPT_S5_lT0_.uses_flat_scratch, 0
	.set _ZN9rocsolver6v33100L9get_arrayI19rocblas_complex_numIdEiEEvPPT_S5_lT0_.has_dyn_sized_stack, 0
	.set _ZN9rocsolver6v33100L9get_arrayI19rocblas_complex_numIdEiEEvPPT_S5_lT0_.has_recursion, 0
	.set _ZN9rocsolver6v33100L9get_arrayI19rocblas_complex_numIdEiEEvPPT_S5_lT0_.has_indirect_call, 0
	.section	.AMDGPU.csdata,"",@progbits
; Kernel info:
; codeLenInByte = 156
; TotalNumSgprs: 12
; NumVgprs: 7
; ScratchSize: 0
; MemoryBound: 0
; FloatMode: 240
; IeeeMode: 1
; LDSByteSize: 0 bytes/workgroup (compile time only)
; SGPRBlocks: 1
; VGPRBlocks: 1
; NumSGPRsForWavesPerEU: 12
; NumVGPRsForWavesPerEU: 7
; Occupancy: 10
; WaveLimiterHint : 0
; COMPUTE_PGM_RSRC2:SCRATCH_EN: 0
; COMPUTE_PGM_RSRC2:USER_SGPR: 6
; COMPUTE_PGM_RSRC2:TRAP_HANDLER: 0
; COMPUTE_PGM_RSRC2:TGID_X_EN: 1
; COMPUTE_PGM_RSRC2:TGID_Y_EN: 0
; COMPUTE_PGM_RSRC2:TGID_Z_EN: 0
; COMPUTE_PGM_RSRC2:TIDIG_COMP_CNT: 0
	.section	.text._ZN9rocsolver6v33100L16mfma_gemm_kernelI19rocblas_complex_numIdEiPKS3_PS3_PKS6_S8_EEv18rocblas_operation_S9_T0_SA_SA_T1_T2_lSA_SA_lT3_lSA_SA_lSB_T4_lSA_SA_l,"axG",@progbits,_ZN9rocsolver6v33100L16mfma_gemm_kernelI19rocblas_complex_numIdEiPKS3_PS3_PKS6_S8_EEv18rocblas_operation_S9_T0_SA_SA_T1_T2_lSA_SA_lT3_lSA_SA_lSB_T4_lSA_SA_l,comdat
	.globl	_ZN9rocsolver6v33100L16mfma_gemm_kernelI19rocblas_complex_numIdEiPKS3_PS3_PKS6_S8_EEv18rocblas_operation_S9_T0_SA_SA_T1_T2_lSA_SA_lT3_lSA_SA_lSB_T4_lSA_SA_l ; -- Begin function _ZN9rocsolver6v33100L16mfma_gemm_kernelI19rocblas_complex_numIdEiPKS3_PS3_PKS6_S8_EEv18rocblas_operation_S9_T0_SA_SA_T1_T2_lSA_SA_lT3_lSA_SA_lSB_T4_lSA_SA_l
	.p2align	8
	.type	_ZN9rocsolver6v33100L16mfma_gemm_kernelI19rocblas_complex_numIdEiPKS3_PS3_PKS6_S8_EEv18rocblas_operation_S9_T0_SA_SA_T1_T2_lSA_SA_lT3_lSA_SA_lSB_T4_lSA_SA_l,@function
_ZN9rocsolver6v33100L16mfma_gemm_kernelI19rocblas_complex_numIdEiPKS3_PS3_PKS6_S8_EEv18rocblas_operation_S9_T0_SA_SA_T1_T2_lSA_SA_lT3_lSA_SA_lSB_T4_lSA_SA_l: ; @_ZN9rocsolver6v33100L16mfma_gemm_kernelI19rocblas_complex_numIdEiPKS3_PS3_PKS6_S8_EEv18rocblas_operation_S9_T0_SA_SA_T1_T2_lSA_SA_lT3_lSA_SA_lSB_T4_lSA_SA_l
; %bb.0:
	s_endpgm
	.section	.rodata,"a",@progbits
	.p2align	6, 0x0
	.amdhsa_kernel _ZN9rocsolver6v33100L16mfma_gemm_kernelI19rocblas_complex_numIdEiPKS3_PS3_PKS6_S8_EEv18rocblas_operation_S9_T0_SA_SA_T1_T2_lSA_SA_lT3_lSA_SA_lSB_T4_lSA_SA_l
		.amdhsa_group_segment_fixed_size 0
		.amdhsa_private_segment_fixed_size 0
		.amdhsa_kernarg_size 136
		.amdhsa_user_sgpr_count 6
		.amdhsa_user_sgpr_private_segment_buffer 1
		.amdhsa_user_sgpr_dispatch_ptr 0
		.amdhsa_user_sgpr_queue_ptr 0
		.amdhsa_user_sgpr_kernarg_segment_ptr 1
		.amdhsa_user_sgpr_dispatch_id 0
		.amdhsa_user_sgpr_flat_scratch_init 0
		.amdhsa_user_sgpr_private_segment_size 0
		.amdhsa_uses_dynamic_stack 0
		.amdhsa_system_sgpr_private_segment_wavefront_offset 0
		.amdhsa_system_sgpr_workgroup_id_x 1
		.amdhsa_system_sgpr_workgroup_id_y 0
		.amdhsa_system_sgpr_workgroup_id_z 0
		.amdhsa_system_sgpr_workgroup_info 0
		.amdhsa_system_vgpr_workitem_id 0
		.amdhsa_next_free_vgpr 1
		.amdhsa_next_free_sgpr 0
		.amdhsa_reserve_vcc 0
		.amdhsa_reserve_flat_scratch 0
		.amdhsa_float_round_mode_32 0
		.amdhsa_float_round_mode_16_64 0
		.amdhsa_float_denorm_mode_32 3
		.amdhsa_float_denorm_mode_16_64 3
		.amdhsa_dx10_clamp 1
		.amdhsa_ieee_mode 1
		.amdhsa_fp16_overflow 0
		.amdhsa_exception_fp_ieee_invalid_op 0
		.amdhsa_exception_fp_denorm_src 0
		.amdhsa_exception_fp_ieee_div_zero 0
		.amdhsa_exception_fp_ieee_overflow 0
		.amdhsa_exception_fp_ieee_underflow 0
		.amdhsa_exception_fp_ieee_inexact 0
		.amdhsa_exception_int_div_zero 0
	.end_amdhsa_kernel
	.section	.text._ZN9rocsolver6v33100L16mfma_gemm_kernelI19rocblas_complex_numIdEiPKS3_PS3_PKS6_S8_EEv18rocblas_operation_S9_T0_SA_SA_T1_T2_lSA_SA_lT3_lSA_SA_lSB_T4_lSA_SA_l,"axG",@progbits,_ZN9rocsolver6v33100L16mfma_gemm_kernelI19rocblas_complex_numIdEiPKS3_PS3_PKS6_S8_EEv18rocblas_operation_S9_T0_SA_SA_T1_T2_lSA_SA_lT3_lSA_SA_lSB_T4_lSA_SA_l,comdat
.Lfunc_end9:
	.size	_ZN9rocsolver6v33100L16mfma_gemm_kernelI19rocblas_complex_numIdEiPKS3_PS3_PKS6_S8_EEv18rocblas_operation_S9_T0_SA_SA_T1_T2_lSA_SA_lT3_lSA_SA_lSB_T4_lSA_SA_l, .Lfunc_end9-_ZN9rocsolver6v33100L16mfma_gemm_kernelI19rocblas_complex_numIdEiPKS3_PS3_PKS6_S8_EEv18rocblas_operation_S9_T0_SA_SA_T1_T2_lSA_SA_lT3_lSA_SA_lSB_T4_lSA_SA_l
                                        ; -- End function
	.set _ZN9rocsolver6v33100L16mfma_gemm_kernelI19rocblas_complex_numIdEiPKS3_PS3_PKS6_S8_EEv18rocblas_operation_S9_T0_SA_SA_T1_T2_lSA_SA_lT3_lSA_SA_lSB_T4_lSA_SA_l.num_vgpr, 0
	.set _ZN9rocsolver6v33100L16mfma_gemm_kernelI19rocblas_complex_numIdEiPKS3_PS3_PKS6_S8_EEv18rocblas_operation_S9_T0_SA_SA_T1_T2_lSA_SA_lT3_lSA_SA_lSB_T4_lSA_SA_l.num_agpr, 0
	.set _ZN9rocsolver6v33100L16mfma_gemm_kernelI19rocblas_complex_numIdEiPKS3_PS3_PKS6_S8_EEv18rocblas_operation_S9_T0_SA_SA_T1_T2_lSA_SA_lT3_lSA_SA_lSB_T4_lSA_SA_l.numbered_sgpr, 0
	.set _ZN9rocsolver6v33100L16mfma_gemm_kernelI19rocblas_complex_numIdEiPKS3_PS3_PKS6_S8_EEv18rocblas_operation_S9_T0_SA_SA_T1_T2_lSA_SA_lT3_lSA_SA_lSB_T4_lSA_SA_l.num_named_barrier, 0
	.set _ZN9rocsolver6v33100L16mfma_gemm_kernelI19rocblas_complex_numIdEiPKS3_PS3_PKS6_S8_EEv18rocblas_operation_S9_T0_SA_SA_T1_T2_lSA_SA_lT3_lSA_SA_lSB_T4_lSA_SA_l.private_seg_size, 0
	.set _ZN9rocsolver6v33100L16mfma_gemm_kernelI19rocblas_complex_numIdEiPKS3_PS3_PKS6_S8_EEv18rocblas_operation_S9_T0_SA_SA_T1_T2_lSA_SA_lT3_lSA_SA_lSB_T4_lSA_SA_l.uses_vcc, 0
	.set _ZN9rocsolver6v33100L16mfma_gemm_kernelI19rocblas_complex_numIdEiPKS3_PS3_PKS6_S8_EEv18rocblas_operation_S9_T0_SA_SA_T1_T2_lSA_SA_lT3_lSA_SA_lSB_T4_lSA_SA_l.uses_flat_scratch, 0
	.set _ZN9rocsolver6v33100L16mfma_gemm_kernelI19rocblas_complex_numIdEiPKS3_PS3_PKS6_S8_EEv18rocblas_operation_S9_T0_SA_SA_T1_T2_lSA_SA_lT3_lSA_SA_lSB_T4_lSA_SA_l.has_dyn_sized_stack, 0
	.set _ZN9rocsolver6v33100L16mfma_gemm_kernelI19rocblas_complex_numIdEiPKS3_PS3_PKS6_S8_EEv18rocblas_operation_S9_T0_SA_SA_T1_T2_lSA_SA_lT3_lSA_SA_lSB_T4_lSA_SA_l.has_recursion, 0
	.set _ZN9rocsolver6v33100L16mfma_gemm_kernelI19rocblas_complex_numIdEiPKS3_PS3_PKS6_S8_EEv18rocblas_operation_S9_T0_SA_SA_T1_T2_lSA_SA_lT3_lSA_SA_lSB_T4_lSA_SA_l.has_indirect_call, 0
	.section	.AMDGPU.csdata,"",@progbits
; Kernel info:
; codeLenInByte = 4
; TotalNumSgprs: 4
; NumVgprs: 0
; ScratchSize: 0
; MemoryBound: 0
; FloatMode: 240
; IeeeMode: 1
; LDSByteSize: 0 bytes/workgroup (compile time only)
; SGPRBlocks: 0
; VGPRBlocks: 0
; NumSGPRsForWavesPerEU: 4
; NumVGPRsForWavesPerEU: 1
; Occupancy: 10
; WaveLimiterHint : 0
; COMPUTE_PGM_RSRC2:SCRATCH_EN: 0
; COMPUTE_PGM_RSRC2:USER_SGPR: 6
; COMPUTE_PGM_RSRC2:TRAP_HANDLER: 0
; COMPUTE_PGM_RSRC2:TGID_X_EN: 1
; COMPUTE_PGM_RSRC2:TGID_Y_EN: 0
; COMPUTE_PGM_RSRC2:TGID_Z_EN: 0
; COMPUTE_PGM_RSRC2:TIDIG_COMP_CNT: 0
	.section	.text._ZN9rocsolver6v33100L16mfma_gemm_kernelI19rocblas_complex_numIdEiS3_PS3_PKS4_S6_EEv18rocblas_operation_S7_T0_S8_S8_T1_T2_lS8_S8_lT3_lS8_S8_lS9_T4_lS8_S8_l,"axG",@progbits,_ZN9rocsolver6v33100L16mfma_gemm_kernelI19rocblas_complex_numIdEiS3_PS3_PKS4_S6_EEv18rocblas_operation_S7_T0_S8_S8_T1_T2_lS8_S8_lT3_lS8_S8_lS9_T4_lS8_S8_l,comdat
	.globl	_ZN9rocsolver6v33100L16mfma_gemm_kernelI19rocblas_complex_numIdEiS3_PS3_PKS4_S6_EEv18rocblas_operation_S7_T0_S8_S8_T1_T2_lS8_S8_lT3_lS8_S8_lS9_T4_lS8_S8_l ; -- Begin function _ZN9rocsolver6v33100L16mfma_gemm_kernelI19rocblas_complex_numIdEiS3_PS3_PKS4_S6_EEv18rocblas_operation_S7_T0_S8_S8_T1_T2_lS8_S8_lT3_lS8_S8_lS9_T4_lS8_S8_l
	.p2align	8
	.type	_ZN9rocsolver6v33100L16mfma_gemm_kernelI19rocblas_complex_numIdEiS3_PS3_PKS4_S6_EEv18rocblas_operation_S7_T0_S8_S8_T1_T2_lS8_S8_lT3_lS8_S8_lS9_T4_lS8_S8_l,@function
_ZN9rocsolver6v33100L16mfma_gemm_kernelI19rocblas_complex_numIdEiS3_PS3_PKS4_S6_EEv18rocblas_operation_S7_T0_S8_S8_T1_T2_lS8_S8_lT3_lS8_S8_lS9_T4_lS8_S8_l: ; @_ZN9rocsolver6v33100L16mfma_gemm_kernelI19rocblas_complex_numIdEiS3_PS3_PKS4_S6_EEv18rocblas_operation_S7_T0_S8_S8_T1_T2_lS8_S8_lT3_lS8_S8_lS9_T4_lS8_S8_l
; %bb.0:
	s_endpgm
	.section	.rodata,"a",@progbits
	.p2align	6, 0x0
	.amdhsa_kernel _ZN9rocsolver6v33100L16mfma_gemm_kernelI19rocblas_complex_numIdEiS3_PS3_PKS4_S6_EEv18rocblas_operation_S7_T0_S8_S8_T1_T2_lS8_S8_lT3_lS8_S8_lS9_T4_lS8_S8_l
		.amdhsa_group_segment_fixed_size 0
		.amdhsa_private_segment_fixed_size 0
		.amdhsa_kernarg_size 152
		.amdhsa_user_sgpr_count 6
		.amdhsa_user_sgpr_private_segment_buffer 1
		.amdhsa_user_sgpr_dispatch_ptr 0
		.amdhsa_user_sgpr_queue_ptr 0
		.amdhsa_user_sgpr_kernarg_segment_ptr 1
		.amdhsa_user_sgpr_dispatch_id 0
		.amdhsa_user_sgpr_flat_scratch_init 0
		.amdhsa_user_sgpr_private_segment_size 0
		.amdhsa_uses_dynamic_stack 0
		.amdhsa_system_sgpr_private_segment_wavefront_offset 0
		.amdhsa_system_sgpr_workgroup_id_x 1
		.amdhsa_system_sgpr_workgroup_id_y 0
		.amdhsa_system_sgpr_workgroup_id_z 0
		.amdhsa_system_sgpr_workgroup_info 0
		.amdhsa_system_vgpr_workitem_id 0
		.amdhsa_next_free_vgpr 1
		.amdhsa_next_free_sgpr 0
		.amdhsa_reserve_vcc 0
		.amdhsa_reserve_flat_scratch 0
		.amdhsa_float_round_mode_32 0
		.amdhsa_float_round_mode_16_64 0
		.amdhsa_float_denorm_mode_32 3
		.amdhsa_float_denorm_mode_16_64 3
		.amdhsa_dx10_clamp 1
		.amdhsa_ieee_mode 1
		.amdhsa_fp16_overflow 0
		.amdhsa_exception_fp_ieee_invalid_op 0
		.amdhsa_exception_fp_denorm_src 0
		.amdhsa_exception_fp_ieee_div_zero 0
		.amdhsa_exception_fp_ieee_overflow 0
		.amdhsa_exception_fp_ieee_underflow 0
		.amdhsa_exception_fp_ieee_inexact 0
		.amdhsa_exception_int_div_zero 0
	.end_amdhsa_kernel
	.section	.text._ZN9rocsolver6v33100L16mfma_gemm_kernelI19rocblas_complex_numIdEiS3_PS3_PKS4_S6_EEv18rocblas_operation_S7_T0_S8_S8_T1_T2_lS8_S8_lT3_lS8_S8_lS9_T4_lS8_S8_l,"axG",@progbits,_ZN9rocsolver6v33100L16mfma_gemm_kernelI19rocblas_complex_numIdEiS3_PS3_PKS4_S6_EEv18rocblas_operation_S7_T0_S8_S8_T1_T2_lS8_S8_lT3_lS8_S8_lS9_T4_lS8_S8_l,comdat
.Lfunc_end10:
	.size	_ZN9rocsolver6v33100L16mfma_gemm_kernelI19rocblas_complex_numIdEiS3_PS3_PKS4_S6_EEv18rocblas_operation_S7_T0_S8_S8_T1_T2_lS8_S8_lT3_lS8_S8_lS9_T4_lS8_S8_l, .Lfunc_end10-_ZN9rocsolver6v33100L16mfma_gemm_kernelI19rocblas_complex_numIdEiS3_PS3_PKS4_S6_EEv18rocblas_operation_S7_T0_S8_S8_T1_T2_lS8_S8_lT3_lS8_S8_lS9_T4_lS8_S8_l
                                        ; -- End function
	.set _ZN9rocsolver6v33100L16mfma_gemm_kernelI19rocblas_complex_numIdEiS3_PS3_PKS4_S6_EEv18rocblas_operation_S7_T0_S8_S8_T1_T2_lS8_S8_lT3_lS8_S8_lS9_T4_lS8_S8_l.num_vgpr, 0
	.set _ZN9rocsolver6v33100L16mfma_gemm_kernelI19rocblas_complex_numIdEiS3_PS3_PKS4_S6_EEv18rocblas_operation_S7_T0_S8_S8_T1_T2_lS8_S8_lT3_lS8_S8_lS9_T4_lS8_S8_l.num_agpr, 0
	.set _ZN9rocsolver6v33100L16mfma_gemm_kernelI19rocblas_complex_numIdEiS3_PS3_PKS4_S6_EEv18rocblas_operation_S7_T0_S8_S8_T1_T2_lS8_S8_lT3_lS8_S8_lS9_T4_lS8_S8_l.numbered_sgpr, 0
	.set _ZN9rocsolver6v33100L16mfma_gemm_kernelI19rocblas_complex_numIdEiS3_PS3_PKS4_S6_EEv18rocblas_operation_S7_T0_S8_S8_T1_T2_lS8_S8_lT3_lS8_S8_lS9_T4_lS8_S8_l.num_named_barrier, 0
	.set _ZN9rocsolver6v33100L16mfma_gemm_kernelI19rocblas_complex_numIdEiS3_PS3_PKS4_S6_EEv18rocblas_operation_S7_T0_S8_S8_T1_T2_lS8_S8_lT3_lS8_S8_lS9_T4_lS8_S8_l.private_seg_size, 0
	.set _ZN9rocsolver6v33100L16mfma_gemm_kernelI19rocblas_complex_numIdEiS3_PS3_PKS4_S6_EEv18rocblas_operation_S7_T0_S8_S8_T1_T2_lS8_S8_lT3_lS8_S8_lS9_T4_lS8_S8_l.uses_vcc, 0
	.set _ZN9rocsolver6v33100L16mfma_gemm_kernelI19rocblas_complex_numIdEiS3_PS3_PKS4_S6_EEv18rocblas_operation_S7_T0_S8_S8_T1_T2_lS8_S8_lT3_lS8_S8_lS9_T4_lS8_S8_l.uses_flat_scratch, 0
	.set _ZN9rocsolver6v33100L16mfma_gemm_kernelI19rocblas_complex_numIdEiS3_PS3_PKS4_S6_EEv18rocblas_operation_S7_T0_S8_S8_T1_T2_lS8_S8_lT3_lS8_S8_lS9_T4_lS8_S8_l.has_dyn_sized_stack, 0
	.set _ZN9rocsolver6v33100L16mfma_gemm_kernelI19rocblas_complex_numIdEiS3_PS3_PKS4_S6_EEv18rocblas_operation_S7_T0_S8_S8_T1_T2_lS8_S8_lT3_lS8_S8_lS9_T4_lS8_S8_l.has_recursion, 0
	.set _ZN9rocsolver6v33100L16mfma_gemm_kernelI19rocblas_complex_numIdEiS3_PS3_PKS4_S6_EEv18rocblas_operation_S7_T0_S8_S8_T1_T2_lS8_S8_lT3_lS8_S8_lS9_T4_lS8_S8_l.has_indirect_call, 0
	.section	.AMDGPU.csdata,"",@progbits
; Kernel info:
; codeLenInByte = 4
; TotalNumSgprs: 4
; NumVgprs: 0
; ScratchSize: 0
; MemoryBound: 0
; FloatMode: 240
; IeeeMode: 1
; LDSByteSize: 0 bytes/workgroup (compile time only)
; SGPRBlocks: 0
; VGPRBlocks: 0
; NumSGPRsForWavesPerEU: 4
; NumVGPRsForWavesPerEU: 1
; Occupancy: 10
; WaveLimiterHint : 0
; COMPUTE_PGM_RSRC2:SCRATCH_EN: 0
; COMPUTE_PGM_RSRC2:USER_SGPR: 6
; COMPUTE_PGM_RSRC2:TRAP_HANDLER: 0
; COMPUTE_PGM_RSRC2:TGID_X_EN: 1
; COMPUTE_PGM_RSRC2:TGID_Y_EN: 0
; COMPUTE_PGM_RSRC2:TGID_Z_EN: 0
; COMPUTE_PGM_RSRC2:TIDIG_COMP_CNT: 0
	.section	.text._ZN9rocsolver6v33100L11gemm_kernelI19rocblas_complex_numIdEiPKS3_PS3_PKS6_S8_EEvT0_S9_S9_T1_bT2_lS9_S9_lbT3_lS9_S9_lSA_T4_lS9_S9_l,"axG",@progbits,_ZN9rocsolver6v33100L11gemm_kernelI19rocblas_complex_numIdEiPKS3_PS3_PKS6_S8_EEvT0_S9_S9_T1_bT2_lS9_S9_lbT3_lS9_S9_lSA_T4_lS9_S9_l,comdat
	.globl	_ZN9rocsolver6v33100L11gemm_kernelI19rocblas_complex_numIdEiPKS3_PS3_PKS6_S8_EEvT0_S9_S9_T1_bT2_lS9_S9_lbT3_lS9_S9_lSA_T4_lS9_S9_l ; -- Begin function _ZN9rocsolver6v33100L11gemm_kernelI19rocblas_complex_numIdEiPKS3_PS3_PKS6_S8_EEvT0_S9_S9_T1_bT2_lS9_S9_lbT3_lS9_S9_lSA_T4_lS9_S9_l
	.p2align	8
	.type	_ZN9rocsolver6v33100L11gemm_kernelI19rocblas_complex_numIdEiPKS3_PS3_PKS6_S8_EEvT0_S9_S9_T1_bT2_lS9_S9_lbT3_lS9_S9_lSA_T4_lS9_S9_l,@function
_ZN9rocsolver6v33100L11gemm_kernelI19rocblas_complex_numIdEiPKS3_PS3_PKS6_S8_EEvT0_S9_S9_T1_bT2_lS9_S9_lbT3_lS9_S9_lSA_T4_lS9_S9_l: ; @_ZN9rocsolver6v33100L11gemm_kernelI19rocblas_complex_numIdEiPKS3_PS3_PKS6_S8_EEvT0_S9_S9_T1_bT2_lS9_S9_lbT3_lS9_S9_lSA_T4_lS9_S9_l
; %bb.0:
	s_load_dword s0, s[4:5], 0x9c
	s_load_dwordx4 s[20:23], s[4:5], 0x0
	s_waitcnt lgkmcnt(0)
	s_lshr_b32 s1, s0, 16
	s_and_b32 s0, s0, 0xffff
	s_mul_i32 s6, s6, s0
	s_mul_i32 s7, s7, s1
	v_add_u32_e32 v9, s6, v0
	v_add_u32_e32 v8, s7, v1
	v_cmp_gt_i32_e32 vcc, s20, v9
	v_cmp_gt_i32_e64 s[0:1], s21, v8
	s_and_b64 s[0:1], vcc, s[0:1]
	s_and_saveexec_b64 s[2:3], s[0:1]
	s_cbranch_execz .LBB11_6
; %bb.1:
	s_load_dwordx4 s[24:27], s[4:5], 0x68
	s_load_dwordx2 s[28:29], s[4:5], 0x10
	s_load_dwordx2 s[6:7], s[4:5], 0x78
	s_ashr_i32 s9, s8, 31
	s_lshl_b64 s[0:1], s[8:9], 3
	s_waitcnt lgkmcnt(0)
	s_add_u32 s2, s26, s0
	s_addc_u32 s3, s27, s1
	s_load_dwordx2 s[20:21], s[2:3], 0x0
	s_cmp_lt_i32 s22, 1
	s_cbranch_scc1 .LBB11_4
; %bb.2:
	s_load_dwordx4 s[36:39], s[4:5], 0x48
	s_load_dword s23, s[4:5], 0x40
	s_load_dword s26, s[4:5], 0x18
	s_load_dwordx8 s[12:19], s[4:5], 0x20
	s_load_dwordx2 s[10:11], s[4:5], 0x58
	s_waitcnt lgkmcnt(0)
	s_add_u32 s0, s36, s0
	s_addc_u32 s1, s37, s1
	s_load_dwordx2 s[2:3], s[0:1], 0x0
	s_bitcmp1_b32 s26, 0
	v_mul_lo_u32 v0, v8, s11
	s_cselect_b64 vcc, -1, 0
	s_bitcmp1_b32 s23, 0
	s_cselect_b64 s[0:1], -1, 0
	s_lshl_b64 s[26:27], s[38:39], 4
	v_ashrrev_i32_e32 v1, 31, v0
	v_lshlrev_b64 v[0:1], 4, v[0:1]
	s_waitcnt lgkmcnt(0)
	s_add_u32 s2, s2, s26
	s_addc_u32 s3, s3, s27
	v_mov_b32_e32 v3, s3
	v_add_co_u32_e64 v4, s[2:3], s2, v0
	v_addc_co_u32_e64 v5, s[2:3], v3, v1, s[2:3]
	s_mul_i32 s2, s18, s9
	s_mul_hi_u32 s3, s18, s8
	v_mul_lo_u32 v2, v9, s16
	s_add_i32 s2, s3, s2
	s_mul_i32 s3, s19, s8
	s_ashr_i32 s11, s10, 31
	s_add_i32 s3, s2, s3
	s_mul_i32 s2, s18, s8
	s_lshl_b64 s[10:11], s[10:11], 4
	s_lshl_b64 s[2:3], s[2:3], 4
	;; [unrolled: 1-line block ×3, first 2 shown]
	s_add_u32 s2, s2, s8
	s_addc_u32 s3, s3, s9
	v_ashrrev_i32_e32 v3, 31, v2
	v_lshlrev_b64 v[0:1], 4, v[2:3]
	s_add_u32 s2, s12, s2
	s_addc_u32 s3, s13, s3
	v_mov_b32_e32 v2, s3
	v_add_co_u32_e64 v0, s[2:3], s2, v0
	v_addc_co_u32_e64 v1, s[2:3], v2, v1, s[2:3]
	v_add_co_u32_e64 v6, s[2:3], 8, v0
	v_addc_co_u32_e64 v7, s[2:3], 0, v1, s[2:3]
	s_ashr_i32 s3, s17, 31
	s_mov_b32 s2, s17
	s_lshl_b64 s[8:9], s[2:3], 4
	v_mov_b32_e32 v0, 0
	v_mov_b32_e32 v2, 0
	;; [unrolled: 1-line block ×6, first 2 shown]
.LBB11_3:                               ; =>This Inner Loop Header: Depth=1
	global_load_dwordx4 v[12:15], v[6:7], off offset:-8
	flat_load_dwordx4 v[16:19], v[4:5]
	v_add_co_u32_e64 v4, s[2:3], s10, v4
	v_addc_co_u32_e64 v5, s[2:3], v5, v10, s[2:3]
	s_add_i32 s22, s22, -1
	v_add_co_u32_e64 v6, s[2:3], s8, v6
	s_cmp_eq_u32 s22, 0
	v_addc_co_u32_e64 v7, s[2:3], v7, v11, s[2:3]
	s_waitcnt vmcnt(0)
	v_xor_b32_e32 v20, 0x80000000, v15
	s_waitcnt lgkmcnt(0)
	v_xor_b32_e32 v21, 0x80000000, v19
	v_cndmask_b32_e32 v15, v15, v20, vcc
	v_cndmask_b32_e64 v19, v19, v21, s[0:1]
	v_mul_f64 v[20:21], v[14:15], v[18:19]
	v_mul_f64 v[14:15], v[14:15], v[16:17]
	v_fma_f64 v[20:21], v[12:13], v[16:17], -v[20:21]
	v_fma_f64 v[12:13], v[12:13], v[18:19], v[14:15]
	v_add_f64 v[2:3], v[2:3], v[20:21]
	v_add_f64 v[0:1], v[0:1], v[12:13]
	s_cbranch_scc0 .LBB11_3
	s_branch .LBB11_5
.LBB11_4:
	v_mov_b32_e32 v0, 0
	v_mov_b32_e32 v2, 0
	;; [unrolled: 1-line block ×4, first 2 shown]
.LBB11_5:
	s_load_dwordx4 s[8:11], s[28:29], 0x0
	s_load_dwordx4 s[0:3], s[24:25], 0x0
                                        ; kill: killed $sgpr28_sgpr29
                                        ; kill: killed $sgpr24_sgpr25
	s_nop 0
	s_load_dwordx2 s[4:5], s[4:5], 0x80
	s_lshl_b64 s[6:7], s[6:7], 4
	s_waitcnt lgkmcnt(0)
	v_mul_f64 v[10:11], s[10:11], v[0:1]
	v_mul_f64 v[0:1], s[8:9], v[0:1]
	v_mul_lo_u32 v4, v9, s4
	v_mad_u64_u32 v[4:5], s[4:5], v8, s5, v[4:5]
	s_add_u32 s4, s20, s6
	s_addc_u32 s5, s21, s7
	v_ashrrev_i32_e32 v5, 31, v4
	v_lshlrev_b64 v[4:5], 4, v[4:5]
	v_mov_b32_e32 v6, s5
	v_add_co_u32_e32 v8, vcc, s4, v4
	v_addc_co_u32_e32 v9, vcc, v6, v5, vcc
	flat_load_dwordx4 v[4:7], v[8:9]
	v_fma_f64 v[10:11], s[8:9], v[2:3], -v[10:11]
	v_fma_f64 v[2:3], s[10:11], v[2:3], v[0:1]
	s_waitcnt vmcnt(0) lgkmcnt(0)
	v_mul_f64 v[12:13], s[2:3], v[6:7]
	v_mul_f64 v[6:7], s[0:1], v[6:7]
	v_fma_f64 v[0:1], s[0:1], v[4:5], -v[12:13]
	v_fma_f64 v[4:5], s[2:3], v[4:5], v[6:7]
	v_add_f64 v[0:1], v[10:11], v[0:1]
	v_add_f64 v[2:3], v[2:3], v[4:5]
	flat_store_dwordx4 v[8:9], v[0:3]
.LBB11_6:
	s_endpgm
	.section	.rodata,"a",@progbits
	.p2align	6, 0x0
	.amdhsa_kernel _ZN9rocsolver6v33100L11gemm_kernelI19rocblas_complex_numIdEiPKS3_PS3_PKS6_S8_EEvT0_S9_S9_T1_bT2_lS9_S9_lbT3_lS9_S9_lSA_T4_lS9_S9_l
		.amdhsa_group_segment_fixed_size 0
		.amdhsa_private_segment_fixed_size 0
		.amdhsa_kernarg_size 400
		.amdhsa_user_sgpr_count 6
		.amdhsa_user_sgpr_private_segment_buffer 1
		.amdhsa_user_sgpr_dispatch_ptr 0
		.amdhsa_user_sgpr_queue_ptr 0
		.amdhsa_user_sgpr_kernarg_segment_ptr 1
		.amdhsa_user_sgpr_dispatch_id 0
		.amdhsa_user_sgpr_flat_scratch_init 0
		.amdhsa_user_sgpr_private_segment_size 0
		.amdhsa_uses_dynamic_stack 0
		.amdhsa_system_sgpr_private_segment_wavefront_offset 0
		.amdhsa_system_sgpr_workgroup_id_x 1
		.amdhsa_system_sgpr_workgroup_id_y 1
		.amdhsa_system_sgpr_workgroup_id_z 1
		.amdhsa_system_sgpr_workgroup_info 0
		.amdhsa_system_vgpr_workitem_id 1
		.amdhsa_next_free_vgpr 22
		.amdhsa_next_free_sgpr 40
		.amdhsa_reserve_vcc 1
		.amdhsa_reserve_flat_scratch 0
		.amdhsa_float_round_mode_32 0
		.amdhsa_float_round_mode_16_64 0
		.amdhsa_float_denorm_mode_32 3
		.amdhsa_float_denorm_mode_16_64 3
		.amdhsa_dx10_clamp 1
		.amdhsa_ieee_mode 1
		.amdhsa_fp16_overflow 0
		.amdhsa_exception_fp_ieee_invalid_op 0
		.amdhsa_exception_fp_denorm_src 0
		.amdhsa_exception_fp_ieee_div_zero 0
		.amdhsa_exception_fp_ieee_overflow 0
		.amdhsa_exception_fp_ieee_underflow 0
		.amdhsa_exception_fp_ieee_inexact 0
		.amdhsa_exception_int_div_zero 0
	.end_amdhsa_kernel
	.section	.text._ZN9rocsolver6v33100L11gemm_kernelI19rocblas_complex_numIdEiPKS3_PS3_PKS6_S8_EEvT0_S9_S9_T1_bT2_lS9_S9_lbT3_lS9_S9_lSA_T4_lS9_S9_l,"axG",@progbits,_ZN9rocsolver6v33100L11gemm_kernelI19rocblas_complex_numIdEiPKS3_PS3_PKS6_S8_EEvT0_S9_S9_T1_bT2_lS9_S9_lbT3_lS9_S9_lSA_T4_lS9_S9_l,comdat
.Lfunc_end11:
	.size	_ZN9rocsolver6v33100L11gemm_kernelI19rocblas_complex_numIdEiPKS3_PS3_PKS6_S8_EEvT0_S9_S9_T1_bT2_lS9_S9_lbT3_lS9_S9_lSA_T4_lS9_S9_l, .Lfunc_end11-_ZN9rocsolver6v33100L11gemm_kernelI19rocblas_complex_numIdEiPKS3_PS3_PKS6_S8_EEvT0_S9_S9_T1_bT2_lS9_S9_lbT3_lS9_S9_lSA_T4_lS9_S9_l
                                        ; -- End function
	.set _ZN9rocsolver6v33100L11gemm_kernelI19rocblas_complex_numIdEiPKS3_PS3_PKS6_S8_EEvT0_S9_S9_T1_bT2_lS9_S9_lbT3_lS9_S9_lSA_T4_lS9_S9_l.num_vgpr, 22
	.set _ZN9rocsolver6v33100L11gemm_kernelI19rocblas_complex_numIdEiPKS3_PS3_PKS6_S8_EEvT0_S9_S9_T1_bT2_lS9_S9_lbT3_lS9_S9_lSA_T4_lS9_S9_l.num_agpr, 0
	.set _ZN9rocsolver6v33100L11gemm_kernelI19rocblas_complex_numIdEiPKS3_PS3_PKS6_S8_EEvT0_S9_S9_T1_bT2_lS9_S9_lbT3_lS9_S9_lSA_T4_lS9_S9_l.numbered_sgpr, 40
	.set _ZN9rocsolver6v33100L11gemm_kernelI19rocblas_complex_numIdEiPKS3_PS3_PKS6_S8_EEvT0_S9_S9_T1_bT2_lS9_S9_lbT3_lS9_S9_lSA_T4_lS9_S9_l.num_named_barrier, 0
	.set _ZN9rocsolver6v33100L11gemm_kernelI19rocblas_complex_numIdEiPKS3_PS3_PKS6_S8_EEvT0_S9_S9_T1_bT2_lS9_S9_lbT3_lS9_S9_lSA_T4_lS9_S9_l.private_seg_size, 0
	.set _ZN9rocsolver6v33100L11gemm_kernelI19rocblas_complex_numIdEiPKS3_PS3_PKS6_S8_EEvT0_S9_S9_T1_bT2_lS9_S9_lbT3_lS9_S9_lSA_T4_lS9_S9_l.uses_vcc, 1
	.set _ZN9rocsolver6v33100L11gemm_kernelI19rocblas_complex_numIdEiPKS3_PS3_PKS6_S8_EEvT0_S9_S9_T1_bT2_lS9_S9_lbT3_lS9_S9_lSA_T4_lS9_S9_l.uses_flat_scratch, 0
	.set _ZN9rocsolver6v33100L11gemm_kernelI19rocblas_complex_numIdEiPKS3_PS3_PKS6_S8_EEvT0_S9_S9_T1_bT2_lS9_S9_lbT3_lS9_S9_lSA_T4_lS9_S9_l.has_dyn_sized_stack, 0
	.set _ZN9rocsolver6v33100L11gemm_kernelI19rocblas_complex_numIdEiPKS3_PS3_PKS6_S8_EEvT0_S9_S9_T1_bT2_lS9_S9_lbT3_lS9_S9_lSA_T4_lS9_S9_l.has_recursion, 0
	.set _ZN9rocsolver6v33100L11gemm_kernelI19rocblas_complex_numIdEiPKS3_PS3_PKS6_S8_EEvT0_S9_S9_T1_bT2_lS9_S9_lbT3_lS9_S9_lSA_T4_lS9_S9_l.has_indirect_call, 0
	.section	.AMDGPU.csdata,"",@progbits
; Kernel info:
; codeLenInByte = 764
; TotalNumSgprs: 44
; NumVgprs: 22
; ScratchSize: 0
; MemoryBound: 0
; FloatMode: 240
; IeeeMode: 1
; LDSByteSize: 0 bytes/workgroup (compile time only)
; SGPRBlocks: 5
; VGPRBlocks: 5
; NumSGPRsForWavesPerEU: 44
; NumVGPRsForWavesPerEU: 22
; Occupancy: 10
; WaveLimiterHint : 1
; COMPUTE_PGM_RSRC2:SCRATCH_EN: 0
; COMPUTE_PGM_RSRC2:USER_SGPR: 6
; COMPUTE_PGM_RSRC2:TRAP_HANDLER: 0
; COMPUTE_PGM_RSRC2:TGID_X_EN: 1
; COMPUTE_PGM_RSRC2:TGID_Y_EN: 1
; COMPUTE_PGM_RSRC2:TGID_Z_EN: 1
; COMPUTE_PGM_RSRC2:TIDIG_COMP_CNT: 1
	.section	.text._ZN9rocsolver6v33100L11gemm_kernelI19rocblas_complex_numIdEiS3_PS3_PKS4_S6_EEvT0_S7_S7_T1_bT2_lS7_S7_lbT3_lS7_S7_lS8_T4_lS7_S7_l,"axG",@progbits,_ZN9rocsolver6v33100L11gemm_kernelI19rocblas_complex_numIdEiS3_PS3_PKS4_S6_EEvT0_S7_S7_T1_bT2_lS7_S7_lbT3_lS7_S7_lS8_T4_lS7_S7_l,comdat
	.globl	_ZN9rocsolver6v33100L11gemm_kernelI19rocblas_complex_numIdEiS3_PS3_PKS4_S6_EEvT0_S7_S7_T1_bT2_lS7_S7_lbT3_lS7_S7_lS8_T4_lS7_S7_l ; -- Begin function _ZN9rocsolver6v33100L11gemm_kernelI19rocblas_complex_numIdEiS3_PS3_PKS4_S6_EEvT0_S7_S7_T1_bT2_lS7_S7_lbT3_lS7_S7_lS8_T4_lS7_S7_l
	.p2align	8
	.type	_ZN9rocsolver6v33100L11gemm_kernelI19rocblas_complex_numIdEiS3_PS3_PKS4_S6_EEvT0_S7_S7_T1_bT2_lS7_S7_lbT3_lS7_S7_lS8_T4_lS7_S7_l,@function
_ZN9rocsolver6v33100L11gemm_kernelI19rocblas_complex_numIdEiS3_PS3_PKS4_S6_EEvT0_S7_S7_T1_bT2_lS7_S7_lbT3_lS7_S7_lS8_T4_lS7_S7_l: ; @_ZN9rocsolver6v33100L11gemm_kernelI19rocblas_complex_numIdEiS3_PS3_PKS4_S6_EEvT0_S7_S7_T1_bT2_lS7_S7_lbT3_lS7_S7_lS8_T4_lS7_S7_l
; %bb.0:
	s_load_dword s0, s[4:5], 0xac
	s_load_dwordx4 s[28:31], s[4:5], 0x0
	s_waitcnt lgkmcnt(0)
	s_lshr_b32 s1, s0, 16
	s_and_b32 s0, s0, 0xffff
	s_mul_i32 s6, s6, s0
	s_mul_i32 s7, s7, s1
	v_add_u32_e32 v9, s6, v0
	v_add_u32_e32 v8, s7, v1
	v_cmp_gt_i32_e32 vcc, s28, v9
	v_cmp_gt_i32_e64 s[0:1], s29, v8
	s_and_b64 s[0:1], vcc, s[0:1]
	s_and_saveexec_b64 s[2:3], s[0:1]
	s_cbranch_execz .LBB12_6
; %bb.1:
	s_load_dwordx8 s[12:19], s[4:5], 0x70
	s_ashr_i32 s9, s8, 31
	s_lshl_b64 s[0:1], s[8:9], 3
	s_waitcnt lgkmcnt(0)
	s_add_u32 s2, s16, s0
	s_addc_u32 s3, s17, s1
	s_load_dwordx2 s[6:7], s[2:3], 0x0
	s_cmp_lt_i32 s30, 1
	s_cbranch_scc1 .LBB12_4
; %bb.2:
	s_load_dwordx4 s[36:39], s[4:5], 0x50
	s_load_dword s16, s[4:5], 0x48
	s_load_dword s17, s[4:5], 0x20
	s_load_dwordx8 s[20:27], s[4:5], 0x28
	s_load_dwordx2 s[10:11], s[4:5], 0x60
	s_waitcnt lgkmcnt(0)
	s_add_u32 s0, s36, s0
	s_addc_u32 s1, s37, s1
	s_load_dwordx2 s[2:3], s[0:1], 0x0
	s_bitcmp1_b32 s17, 0
	v_mul_lo_u32 v0, v8, s11
	s_cselect_b64 vcc, -1, 0
	s_bitcmp1_b32 s16, 0
	s_cselect_b64 s[0:1], -1, 0
	s_lshl_b64 s[16:17], s[38:39], 4
	v_ashrrev_i32_e32 v1, 31, v0
	v_lshlrev_b64 v[0:1], 4, v[0:1]
	s_waitcnt lgkmcnt(0)
	s_add_u32 s2, s2, s16
	s_addc_u32 s3, s3, s17
	v_mov_b32_e32 v3, s3
	v_add_co_u32_e64 v4, s[2:3], s2, v0
	v_addc_co_u32_e64 v5, s[2:3], v3, v1, s[2:3]
	s_mul_i32 s2, s26, s9
	s_mul_hi_u32 s3, s26, s8
	v_mul_lo_u32 v2, v9, s24
	s_add_i32 s2, s3, s2
	s_mul_i32 s3, s27, s8
	s_ashr_i32 s11, s10, 31
	s_add_i32 s3, s2, s3
	s_mul_i32 s2, s26, s8
	s_lshl_b64 s[10:11], s[10:11], 4
	s_lshl_b64 s[2:3], s[2:3], 4
	;; [unrolled: 1-line block ×3, first 2 shown]
	s_add_u32 s2, s2, s8
	s_addc_u32 s3, s3, s9
	v_ashrrev_i32_e32 v3, 31, v2
	v_lshlrev_b64 v[0:1], 4, v[2:3]
	s_add_u32 s2, s20, s2
	s_addc_u32 s3, s21, s3
	v_mov_b32_e32 v2, s3
	v_add_co_u32_e64 v0, s[2:3], s2, v0
	v_addc_co_u32_e64 v1, s[2:3], v2, v1, s[2:3]
	v_add_co_u32_e64 v6, s[2:3], 8, v0
	v_addc_co_u32_e64 v7, s[2:3], 0, v1, s[2:3]
	s_ashr_i32 s3, s25, 31
	s_mov_b32 s2, s25
	s_lshl_b64 s[8:9], s[2:3], 4
	v_mov_b32_e32 v0, 0
	v_mov_b32_e32 v2, 0
	;; [unrolled: 1-line block ×6, first 2 shown]
.LBB12_3:                               ; =>This Inner Loop Header: Depth=1
	global_load_dwordx4 v[12:15], v[6:7], off offset:-8
	flat_load_dwordx4 v[16:19], v[4:5]
	v_add_co_u32_e64 v4, s[2:3], s10, v4
	v_addc_co_u32_e64 v5, s[2:3], v5, v10, s[2:3]
	s_add_i32 s30, s30, -1
	v_add_co_u32_e64 v6, s[2:3], s8, v6
	s_cmp_eq_u32 s30, 0
	v_addc_co_u32_e64 v7, s[2:3], v7, v11, s[2:3]
	s_waitcnt vmcnt(0)
	v_xor_b32_e32 v20, 0x80000000, v15
	s_waitcnt lgkmcnt(0)
	v_xor_b32_e32 v21, 0x80000000, v19
	v_cndmask_b32_e32 v15, v15, v20, vcc
	v_cndmask_b32_e64 v19, v19, v21, s[0:1]
	v_mul_f64 v[20:21], v[14:15], v[18:19]
	v_mul_f64 v[14:15], v[14:15], v[16:17]
	v_fma_f64 v[20:21], v[12:13], v[16:17], -v[20:21]
	v_fma_f64 v[12:13], v[12:13], v[18:19], v[14:15]
	v_add_f64 v[2:3], v[2:3], v[20:21]
	v_add_f64 v[0:1], v[0:1], v[12:13]
	s_cbranch_scc0 .LBB12_3
	s_branch .LBB12_5
.LBB12_4:
	v_mov_b32_e32 v0, 0
	v_mov_b32_e32 v2, 0
	;; [unrolled: 1-line block ×4, first 2 shown]
.LBB12_5:
	s_load_dwordx4 s[0:3], s[4:5], 0x10
	s_nop 0
	s_load_dwordx2 s[4:5], s[4:5], 0x90
	s_lshl_b64 s[8:9], s[18:19], 4
	s_waitcnt lgkmcnt(0)
	v_mul_f64 v[10:11], s[2:3], v[0:1]
	v_mul_lo_u32 v4, v9, s4
	v_mul_f64 v[0:1], s[0:1], v[0:1]
	v_mad_u64_u32 v[4:5], s[4:5], v8, s5, v[4:5]
	s_add_u32 s4, s6, s8
	s_addc_u32 s5, s7, s9
	v_ashrrev_i32_e32 v5, 31, v4
	v_lshlrev_b64 v[4:5], 4, v[4:5]
	v_mov_b32_e32 v6, s5
	v_add_co_u32_e32 v8, vcc, s4, v4
	v_addc_co_u32_e32 v9, vcc, v6, v5, vcc
	flat_load_dwordx4 v[4:7], v[8:9]
	v_fma_f64 v[10:11], s[0:1], v[2:3], -v[10:11]
	v_fma_f64 v[2:3], s[2:3], v[2:3], v[0:1]
	s_waitcnt vmcnt(0) lgkmcnt(0)
	v_mul_f64 v[12:13], s[14:15], v[6:7]
	v_mul_f64 v[6:7], s[12:13], v[6:7]
	v_fma_f64 v[0:1], s[12:13], v[4:5], -v[12:13]
	v_fma_f64 v[4:5], s[14:15], v[4:5], v[6:7]
	v_add_f64 v[0:1], v[10:11], v[0:1]
	v_add_f64 v[2:3], v[2:3], v[4:5]
	flat_store_dwordx4 v[8:9], v[0:3]
.LBB12_6:
	s_endpgm
	.section	.rodata,"a",@progbits
	.p2align	6, 0x0
	.amdhsa_kernel _ZN9rocsolver6v33100L11gemm_kernelI19rocblas_complex_numIdEiS3_PS3_PKS4_S6_EEvT0_S7_S7_T1_bT2_lS7_S7_lbT3_lS7_S7_lS8_T4_lS7_S7_l
		.amdhsa_group_segment_fixed_size 0
		.amdhsa_private_segment_fixed_size 0
		.amdhsa_kernarg_size 416
		.amdhsa_user_sgpr_count 6
		.amdhsa_user_sgpr_private_segment_buffer 1
		.amdhsa_user_sgpr_dispatch_ptr 0
		.amdhsa_user_sgpr_queue_ptr 0
		.amdhsa_user_sgpr_kernarg_segment_ptr 1
		.amdhsa_user_sgpr_dispatch_id 0
		.amdhsa_user_sgpr_flat_scratch_init 0
		.amdhsa_user_sgpr_private_segment_size 0
		.amdhsa_uses_dynamic_stack 0
		.amdhsa_system_sgpr_private_segment_wavefront_offset 0
		.amdhsa_system_sgpr_workgroup_id_x 1
		.amdhsa_system_sgpr_workgroup_id_y 1
		.amdhsa_system_sgpr_workgroup_id_z 1
		.amdhsa_system_sgpr_workgroup_info 0
		.amdhsa_system_vgpr_workitem_id 1
		.amdhsa_next_free_vgpr 22
		.amdhsa_next_free_sgpr 40
		.amdhsa_reserve_vcc 1
		.amdhsa_reserve_flat_scratch 0
		.amdhsa_float_round_mode_32 0
		.amdhsa_float_round_mode_16_64 0
		.amdhsa_float_denorm_mode_32 3
		.amdhsa_float_denorm_mode_16_64 3
		.amdhsa_dx10_clamp 1
		.amdhsa_ieee_mode 1
		.amdhsa_fp16_overflow 0
		.amdhsa_exception_fp_ieee_invalid_op 0
		.amdhsa_exception_fp_denorm_src 0
		.amdhsa_exception_fp_ieee_div_zero 0
		.amdhsa_exception_fp_ieee_overflow 0
		.amdhsa_exception_fp_ieee_underflow 0
		.amdhsa_exception_fp_ieee_inexact 0
		.amdhsa_exception_int_div_zero 0
	.end_amdhsa_kernel
	.section	.text._ZN9rocsolver6v33100L11gemm_kernelI19rocblas_complex_numIdEiS3_PS3_PKS4_S6_EEvT0_S7_S7_T1_bT2_lS7_S7_lbT3_lS7_S7_lS8_T4_lS7_S7_l,"axG",@progbits,_ZN9rocsolver6v33100L11gemm_kernelI19rocblas_complex_numIdEiS3_PS3_PKS4_S6_EEvT0_S7_S7_T1_bT2_lS7_S7_lbT3_lS7_S7_lS8_T4_lS7_S7_l,comdat
.Lfunc_end12:
	.size	_ZN9rocsolver6v33100L11gemm_kernelI19rocblas_complex_numIdEiS3_PS3_PKS4_S6_EEvT0_S7_S7_T1_bT2_lS7_S7_lbT3_lS7_S7_lS8_T4_lS7_S7_l, .Lfunc_end12-_ZN9rocsolver6v33100L11gemm_kernelI19rocblas_complex_numIdEiS3_PS3_PKS4_S6_EEvT0_S7_S7_T1_bT2_lS7_S7_lbT3_lS7_S7_lS8_T4_lS7_S7_l
                                        ; -- End function
	.set _ZN9rocsolver6v33100L11gemm_kernelI19rocblas_complex_numIdEiS3_PS3_PKS4_S6_EEvT0_S7_S7_T1_bT2_lS7_S7_lbT3_lS7_S7_lS8_T4_lS7_S7_l.num_vgpr, 22
	.set _ZN9rocsolver6v33100L11gemm_kernelI19rocblas_complex_numIdEiS3_PS3_PKS4_S6_EEvT0_S7_S7_T1_bT2_lS7_S7_lbT3_lS7_S7_lS8_T4_lS7_S7_l.num_agpr, 0
	.set _ZN9rocsolver6v33100L11gemm_kernelI19rocblas_complex_numIdEiS3_PS3_PKS4_S6_EEvT0_S7_S7_T1_bT2_lS7_S7_lbT3_lS7_S7_lS8_T4_lS7_S7_l.numbered_sgpr, 40
	.set _ZN9rocsolver6v33100L11gemm_kernelI19rocblas_complex_numIdEiS3_PS3_PKS4_S6_EEvT0_S7_S7_T1_bT2_lS7_S7_lbT3_lS7_S7_lS8_T4_lS7_S7_l.num_named_barrier, 0
	.set _ZN9rocsolver6v33100L11gemm_kernelI19rocblas_complex_numIdEiS3_PS3_PKS4_S6_EEvT0_S7_S7_T1_bT2_lS7_S7_lbT3_lS7_S7_lS8_T4_lS7_S7_l.private_seg_size, 0
	.set _ZN9rocsolver6v33100L11gemm_kernelI19rocblas_complex_numIdEiS3_PS3_PKS4_S6_EEvT0_S7_S7_T1_bT2_lS7_S7_lbT3_lS7_S7_lS8_T4_lS7_S7_l.uses_vcc, 1
	.set _ZN9rocsolver6v33100L11gemm_kernelI19rocblas_complex_numIdEiS3_PS3_PKS4_S6_EEvT0_S7_S7_T1_bT2_lS7_S7_lbT3_lS7_S7_lS8_T4_lS7_S7_l.uses_flat_scratch, 0
	.set _ZN9rocsolver6v33100L11gemm_kernelI19rocblas_complex_numIdEiS3_PS3_PKS4_S6_EEvT0_S7_S7_T1_bT2_lS7_S7_lbT3_lS7_S7_lS8_T4_lS7_S7_l.has_dyn_sized_stack, 0
	.set _ZN9rocsolver6v33100L11gemm_kernelI19rocblas_complex_numIdEiS3_PS3_PKS4_S6_EEvT0_S7_S7_T1_bT2_lS7_S7_lbT3_lS7_S7_lS8_T4_lS7_S7_l.has_recursion, 0
	.set _ZN9rocsolver6v33100L11gemm_kernelI19rocblas_complex_numIdEiS3_PS3_PKS4_S6_EEvT0_S7_S7_T1_bT2_lS7_S7_lbT3_lS7_S7_lS8_T4_lS7_S7_l.has_indirect_call, 0
	.section	.AMDGPU.csdata,"",@progbits
; Kernel info:
; codeLenInByte = 740
; TotalNumSgprs: 44
; NumVgprs: 22
; ScratchSize: 0
; MemoryBound: 0
; FloatMode: 240
; IeeeMode: 1
; LDSByteSize: 0 bytes/workgroup (compile time only)
; SGPRBlocks: 5
; VGPRBlocks: 5
; NumSGPRsForWavesPerEU: 44
; NumVGPRsForWavesPerEU: 22
; Occupancy: 10
; WaveLimiterHint : 1
; COMPUTE_PGM_RSRC2:SCRATCH_EN: 0
; COMPUTE_PGM_RSRC2:USER_SGPR: 6
; COMPUTE_PGM_RSRC2:TRAP_HANDLER: 0
; COMPUTE_PGM_RSRC2:TGID_X_EN: 1
; COMPUTE_PGM_RSRC2:TGID_Y_EN: 1
; COMPUTE_PGM_RSRC2:TGID_Z_EN: 1
; COMPUTE_PGM_RSRC2:TIDIG_COMP_CNT: 1
	.section	.text._ZN9rocsolver6v33100L16mfma_gemm_kernelI19rocblas_complex_numIdEiPKS3_PKPS3_S6_S8_EEv18rocblas_operation_S9_T0_SA_SA_T1_T2_lSA_SA_lT3_lSA_SA_lSB_T4_lSA_SA_l,"axG",@progbits,_ZN9rocsolver6v33100L16mfma_gemm_kernelI19rocblas_complex_numIdEiPKS3_PKPS3_S6_S8_EEv18rocblas_operation_S9_T0_SA_SA_T1_T2_lSA_SA_lT3_lSA_SA_lSB_T4_lSA_SA_l,comdat
	.globl	_ZN9rocsolver6v33100L16mfma_gemm_kernelI19rocblas_complex_numIdEiPKS3_PKPS3_S6_S8_EEv18rocblas_operation_S9_T0_SA_SA_T1_T2_lSA_SA_lT3_lSA_SA_lSB_T4_lSA_SA_l ; -- Begin function _ZN9rocsolver6v33100L16mfma_gemm_kernelI19rocblas_complex_numIdEiPKS3_PKPS3_S6_S8_EEv18rocblas_operation_S9_T0_SA_SA_T1_T2_lSA_SA_lT3_lSA_SA_lSB_T4_lSA_SA_l
	.p2align	8
	.type	_ZN9rocsolver6v33100L16mfma_gemm_kernelI19rocblas_complex_numIdEiPKS3_PKPS3_S6_S8_EEv18rocblas_operation_S9_T0_SA_SA_T1_T2_lSA_SA_lT3_lSA_SA_lSB_T4_lSA_SA_l,@function
_ZN9rocsolver6v33100L16mfma_gemm_kernelI19rocblas_complex_numIdEiPKS3_PKPS3_S6_S8_EEv18rocblas_operation_S9_T0_SA_SA_T1_T2_lSA_SA_lT3_lSA_SA_lSB_T4_lSA_SA_l: ; @_ZN9rocsolver6v33100L16mfma_gemm_kernelI19rocblas_complex_numIdEiPKS3_PKPS3_S6_S8_EEv18rocblas_operation_S9_T0_SA_SA_T1_T2_lSA_SA_lT3_lSA_SA_lSB_T4_lSA_SA_l
; %bb.0:
	s_endpgm
	.section	.rodata,"a",@progbits
	.p2align	6, 0x0
	.amdhsa_kernel _ZN9rocsolver6v33100L16mfma_gemm_kernelI19rocblas_complex_numIdEiPKS3_PKPS3_S6_S8_EEv18rocblas_operation_S9_T0_SA_SA_T1_T2_lSA_SA_lT3_lSA_SA_lSB_T4_lSA_SA_l
		.amdhsa_group_segment_fixed_size 0
		.amdhsa_private_segment_fixed_size 0
		.amdhsa_kernarg_size 136
		.amdhsa_user_sgpr_count 6
		.amdhsa_user_sgpr_private_segment_buffer 1
		.amdhsa_user_sgpr_dispatch_ptr 0
		.amdhsa_user_sgpr_queue_ptr 0
		.amdhsa_user_sgpr_kernarg_segment_ptr 1
		.amdhsa_user_sgpr_dispatch_id 0
		.amdhsa_user_sgpr_flat_scratch_init 0
		.amdhsa_user_sgpr_private_segment_size 0
		.amdhsa_uses_dynamic_stack 0
		.amdhsa_system_sgpr_private_segment_wavefront_offset 0
		.amdhsa_system_sgpr_workgroup_id_x 1
		.amdhsa_system_sgpr_workgroup_id_y 0
		.amdhsa_system_sgpr_workgroup_id_z 0
		.amdhsa_system_sgpr_workgroup_info 0
		.amdhsa_system_vgpr_workitem_id 0
		.amdhsa_next_free_vgpr 1
		.amdhsa_next_free_sgpr 0
		.amdhsa_reserve_vcc 0
		.amdhsa_reserve_flat_scratch 0
		.amdhsa_float_round_mode_32 0
		.amdhsa_float_round_mode_16_64 0
		.amdhsa_float_denorm_mode_32 3
		.amdhsa_float_denorm_mode_16_64 3
		.amdhsa_dx10_clamp 1
		.amdhsa_ieee_mode 1
		.amdhsa_fp16_overflow 0
		.amdhsa_exception_fp_ieee_invalid_op 0
		.amdhsa_exception_fp_denorm_src 0
		.amdhsa_exception_fp_ieee_div_zero 0
		.amdhsa_exception_fp_ieee_overflow 0
		.amdhsa_exception_fp_ieee_underflow 0
		.amdhsa_exception_fp_ieee_inexact 0
		.amdhsa_exception_int_div_zero 0
	.end_amdhsa_kernel
	.section	.text._ZN9rocsolver6v33100L16mfma_gemm_kernelI19rocblas_complex_numIdEiPKS3_PKPS3_S6_S8_EEv18rocblas_operation_S9_T0_SA_SA_T1_T2_lSA_SA_lT3_lSA_SA_lSB_T4_lSA_SA_l,"axG",@progbits,_ZN9rocsolver6v33100L16mfma_gemm_kernelI19rocblas_complex_numIdEiPKS3_PKPS3_S6_S8_EEv18rocblas_operation_S9_T0_SA_SA_T1_T2_lSA_SA_lT3_lSA_SA_lSB_T4_lSA_SA_l,comdat
.Lfunc_end13:
	.size	_ZN9rocsolver6v33100L16mfma_gemm_kernelI19rocblas_complex_numIdEiPKS3_PKPS3_S6_S8_EEv18rocblas_operation_S9_T0_SA_SA_T1_T2_lSA_SA_lT3_lSA_SA_lSB_T4_lSA_SA_l, .Lfunc_end13-_ZN9rocsolver6v33100L16mfma_gemm_kernelI19rocblas_complex_numIdEiPKS3_PKPS3_S6_S8_EEv18rocblas_operation_S9_T0_SA_SA_T1_T2_lSA_SA_lT3_lSA_SA_lSB_T4_lSA_SA_l
                                        ; -- End function
	.set _ZN9rocsolver6v33100L16mfma_gemm_kernelI19rocblas_complex_numIdEiPKS3_PKPS3_S6_S8_EEv18rocblas_operation_S9_T0_SA_SA_T1_T2_lSA_SA_lT3_lSA_SA_lSB_T4_lSA_SA_l.num_vgpr, 0
	.set _ZN9rocsolver6v33100L16mfma_gemm_kernelI19rocblas_complex_numIdEiPKS3_PKPS3_S6_S8_EEv18rocblas_operation_S9_T0_SA_SA_T1_T2_lSA_SA_lT3_lSA_SA_lSB_T4_lSA_SA_l.num_agpr, 0
	.set _ZN9rocsolver6v33100L16mfma_gemm_kernelI19rocblas_complex_numIdEiPKS3_PKPS3_S6_S8_EEv18rocblas_operation_S9_T0_SA_SA_T1_T2_lSA_SA_lT3_lSA_SA_lSB_T4_lSA_SA_l.numbered_sgpr, 0
	.set _ZN9rocsolver6v33100L16mfma_gemm_kernelI19rocblas_complex_numIdEiPKS3_PKPS3_S6_S8_EEv18rocblas_operation_S9_T0_SA_SA_T1_T2_lSA_SA_lT3_lSA_SA_lSB_T4_lSA_SA_l.num_named_barrier, 0
	.set _ZN9rocsolver6v33100L16mfma_gemm_kernelI19rocblas_complex_numIdEiPKS3_PKPS3_S6_S8_EEv18rocblas_operation_S9_T0_SA_SA_T1_T2_lSA_SA_lT3_lSA_SA_lSB_T4_lSA_SA_l.private_seg_size, 0
	.set _ZN9rocsolver6v33100L16mfma_gemm_kernelI19rocblas_complex_numIdEiPKS3_PKPS3_S6_S8_EEv18rocblas_operation_S9_T0_SA_SA_T1_T2_lSA_SA_lT3_lSA_SA_lSB_T4_lSA_SA_l.uses_vcc, 0
	.set _ZN9rocsolver6v33100L16mfma_gemm_kernelI19rocblas_complex_numIdEiPKS3_PKPS3_S6_S8_EEv18rocblas_operation_S9_T0_SA_SA_T1_T2_lSA_SA_lT3_lSA_SA_lSB_T4_lSA_SA_l.uses_flat_scratch, 0
	.set _ZN9rocsolver6v33100L16mfma_gemm_kernelI19rocblas_complex_numIdEiPKS3_PKPS3_S6_S8_EEv18rocblas_operation_S9_T0_SA_SA_T1_T2_lSA_SA_lT3_lSA_SA_lSB_T4_lSA_SA_l.has_dyn_sized_stack, 0
	.set _ZN9rocsolver6v33100L16mfma_gemm_kernelI19rocblas_complex_numIdEiPKS3_PKPS3_S6_S8_EEv18rocblas_operation_S9_T0_SA_SA_T1_T2_lSA_SA_lT3_lSA_SA_lSB_T4_lSA_SA_l.has_recursion, 0
	.set _ZN9rocsolver6v33100L16mfma_gemm_kernelI19rocblas_complex_numIdEiPKS3_PKPS3_S6_S8_EEv18rocblas_operation_S9_T0_SA_SA_T1_T2_lSA_SA_lT3_lSA_SA_lSB_T4_lSA_SA_l.has_indirect_call, 0
	.section	.AMDGPU.csdata,"",@progbits
; Kernel info:
; codeLenInByte = 4
; TotalNumSgprs: 4
; NumVgprs: 0
; ScratchSize: 0
; MemoryBound: 0
; FloatMode: 240
; IeeeMode: 1
; LDSByteSize: 0 bytes/workgroup (compile time only)
; SGPRBlocks: 0
; VGPRBlocks: 0
; NumSGPRsForWavesPerEU: 4
; NumVGPRsForWavesPerEU: 1
; Occupancy: 10
; WaveLimiterHint : 0
; COMPUTE_PGM_RSRC2:SCRATCH_EN: 0
; COMPUTE_PGM_RSRC2:USER_SGPR: 6
; COMPUTE_PGM_RSRC2:TRAP_HANDLER: 0
; COMPUTE_PGM_RSRC2:TGID_X_EN: 1
; COMPUTE_PGM_RSRC2:TGID_Y_EN: 0
; COMPUTE_PGM_RSRC2:TGID_Z_EN: 0
; COMPUTE_PGM_RSRC2:TIDIG_COMP_CNT: 0
	.section	.text._ZN9rocsolver6v33100L16mfma_gemm_kernelI19rocblas_complex_numIdEiS3_PKPS3_S4_S6_EEv18rocblas_operation_S7_T0_S8_S8_T1_T2_lS8_S8_lT3_lS8_S8_lS9_T4_lS8_S8_l,"axG",@progbits,_ZN9rocsolver6v33100L16mfma_gemm_kernelI19rocblas_complex_numIdEiS3_PKPS3_S4_S6_EEv18rocblas_operation_S7_T0_S8_S8_T1_T2_lS8_S8_lT3_lS8_S8_lS9_T4_lS8_S8_l,comdat
	.globl	_ZN9rocsolver6v33100L16mfma_gemm_kernelI19rocblas_complex_numIdEiS3_PKPS3_S4_S6_EEv18rocblas_operation_S7_T0_S8_S8_T1_T2_lS8_S8_lT3_lS8_S8_lS9_T4_lS8_S8_l ; -- Begin function _ZN9rocsolver6v33100L16mfma_gemm_kernelI19rocblas_complex_numIdEiS3_PKPS3_S4_S6_EEv18rocblas_operation_S7_T0_S8_S8_T1_T2_lS8_S8_lT3_lS8_S8_lS9_T4_lS8_S8_l
	.p2align	8
	.type	_ZN9rocsolver6v33100L16mfma_gemm_kernelI19rocblas_complex_numIdEiS3_PKPS3_S4_S6_EEv18rocblas_operation_S7_T0_S8_S8_T1_T2_lS8_S8_lT3_lS8_S8_lS9_T4_lS8_S8_l,@function
_ZN9rocsolver6v33100L16mfma_gemm_kernelI19rocblas_complex_numIdEiS3_PKPS3_S4_S6_EEv18rocblas_operation_S7_T0_S8_S8_T1_T2_lS8_S8_lT3_lS8_S8_lS9_T4_lS8_S8_l: ; @_ZN9rocsolver6v33100L16mfma_gemm_kernelI19rocblas_complex_numIdEiS3_PKPS3_S4_S6_EEv18rocblas_operation_S7_T0_S8_S8_T1_T2_lS8_S8_lT3_lS8_S8_lS9_T4_lS8_S8_l
; %bb.0:
	s_endpgm
	.section	.rodata,"a",@progbits
	.p2align	6, 0x0
	.amdhsa_kernel _ZN9rocsolver6v33100L16mfma_gemm_kernelI19rocblas_complex_numIdEiS3_PKPS3_S4_S6_EEv18rocblas_operation_S7_T0_S8_S8_T1_T2_lS8_S8_lT3_lS8_S8_lS9_T4_lS8_S8_l
		.amdhsa_group_segment_fixed_size 0
		.amdhsa_private_segment_fixed_size 0
		.amdhsa_kernarg_size 152
		.amdhsa_user_sgpr_count 6
		.amdhsa_user_sgpr_private_segment_buffer 1
		.amdhsa_user_sgpr_dispatch_ptr 0
		.amdhsa_user_sgpr_queue_ptr 0
		.amdhsa_user_sgpr_kernarg_segment_ptr 1
		.amdhsa_user_sgpr_dispatch_id 0
		.amdhsa_user_sgpr_flat_scratch_init 0
		.amdhsa_user_sgpr_private_segment_size 0
		.amdhsa_uses_dynamic_stack 0
		.amdhsa_system_sgpr_private_segment_wavefront_offset 0
		.amdhsa_system_sgpr_workgroup_id_x 1
		.amdhsa_system_sgpr_workgroup_id_y 0
		.amdhsa_system_sgpr_workgroup_id_z 0
		.amdhsa_system_sgpr_workgroup_info 0
		.amdhsa_system_vgpr_workitem_id 0
		.amdhsa_next_free_vgpr 1
		.amdhsa_next_free_sgpr 0
		.amdhsa_reserve_vcc 0
		.amdhsa_reserve_flat_scratch 0
		.amdhsa_float_round_mode_32 0
		.amdhsa_float_round_mode_16_64 0
		.amdhsa_float_denorm_mode_32 3
		.amdhsa_float_denorm_mode_16_64 3
		.amdhsa_dx10_clamp 1
		.amdhsa_ieee_mode 1
		.amdhsa_fp16_overflow 0
		.amdhsa_exception_fp_ieee_invalid_op 0
		.amdhsa_exception_fp_denorm_src 0
		.amdhsa_exception_fp_ieee_div_zero 0
		.amdhsa_exception_fp_ieee_overflow 0
		.amdhsa_exception_fp_ieee_underflow 0
		.amdhsa_exception_fp_ieee_inexact 0
		.amdhsa_exception_int_div_zero 0
	.end_amdhsa_kernel
	.section	.text._ZN9rocsolver6v33100L16mfma_gemm_kernelI19rocblas_complex_numIdEiS3_PKPS3_S4_S6_EEv18rocblas_operation_S7_T0_S8_S8_T1_T2_lS8_S8_lT3_lS8_S8_lS9_T4_lS8_S8_l,"axG",@progbits,_ZN9rocsolver6v33100L16mfma_gemm_kernelI19rocblas_complex_numIdEiS3_PKPS3_S4_S6_EEv18rocblas_operation_S7_T0_S8_S8_T1_T2_lS8_S8_lT3_lS8_S8_lS9_T4_lS8_S8_l,comdat
.Lfunc_end14:
	.size	_ZN9rocsolver6v33100L16mfma_gemm_kernelI19rocblas_complex_numIdEiS3_PKPS3_S4_S6_EEv18rocblas_operation_S7_T0_S8_S8_T1_T2_lS8_S8_lT3_lS8_S8_lS9_T4_lS8_S8_l, .Lfunc_end14-_ZN9rocsolver6v33100L16mfma_gemm_kernelI19rocblas_complex_numIdEiS3_PKPS3_S4_S6_EEv18rocblas_operation_S7_T0_S8_S8_T1_T2_lS8_S8_lT3_lS8_S8_lS9_T4_lS8_S8_l
                                        ; -- End function
	.set _ZN9rocsolver6v33100L16mfma_gemm_kernelI19rocblas_complex_numIdEiS3_PKPS3_S4_S6_EEv18rocblas_operation_S7_T0_S8_S8_T1_T2_lS8_S8_lT3_lS8_S8_lS9_T4_lS8_S8_l.num_vgpr, 0
	.set _ZN9rocsolver6v33100L16mfma_gemm_kernelI19rocblas_complex_numIdEiS3_PKPS3_S4_S6_EEv18rocblas_operation_S7_T0_S8_S8_T1_T2_lS8_S8_lT3_lS8_S8_lS9_T4_lS8_S8_l.num_agpr, 0
	.set _ZN9rocsolver6v33100L16mfma_gemm_kernelI19rocblas_complex_numIdEiS3_PKPS3_S4_S6_EEv18rocblas_operation_S7_T0_S8_S8_T1_T2_lS8_S8_lT3_lS8_S8_lS9_T4_lS8_S8_l.numbered_sgpr, 0
	.set _ZN9rocsolver6v33100L16mfma_gemm_kernelI19rocblas_complex_numIdEiS3_PKPS3_S4_S6_EEv18rocblas_operation_S7_T0_S8_S8_T1_T2_lS8_S8_lT3_lS8_S8_lS9_T4_lS8_S8_l.num_named_barrier, 0
	.set _ZN9rocsolver6v33100L16mfma_gemm_kernelI19rocblas_complex_numIdEiS3_PKPS3_S4_S6_EEv18rocblas_operation_S7_T0_S8_S8_T1_T2_lS8_S8_lT3_lS8_S8_lS9_T4_lS8_S8_l.private_seg_size, 0
	.set _ZN9rocsolver6v33100L16mfma_gemm_kernelI19rocblas_complex_numIdEiS3_PKPS3_S4_S6_EEv18rocblas_operation_S7_T0_S8_S8_T1_T2_lS8_S8_lT3_lS8_S8_lS9_T4_lS8_S8_l.uses_vcc, 0
	.set _ZN9rocsolver6v33100L16mfma_gemm_kernelI19rocblas_complex_numIdEiS3_PKPS3_S4_S6_EEv18rocblas_operation_S7_T0_S8_S8_T1_T2_lS8_S8_lT3_lS8_S8_lS9_T4_lS8_S8_l.uses_flat_scratch, 0
	.set _ZN9rocsolver6v33100L16mfma_gemm_kernelI19rocblas_complex_numIdEiS3_PKPS3_S4_S6_EEv18rocblas_operation_S7_T0_S8_S8_T1_T2_lS8_S8_lT3_lS8_S8_lS9_T4_lS8_S8_l.has_dyn_sized_stack, 0
	.set _ZN9rocsolver6v33100L16mfma_gemm_kernelI19rocblas_complex_numIdEiS3_PKPS3_S4_S6_EEv18rocblas_operation_S7_T0_S8_S8_T1_T2_lS8_S8_lT3_lS8_S8_lS9_T4_lS8_S8_l.has_recursion, 0
	.set _ZN9rocsolver6v33100L16mfma_gemm_kernelI19rocblas_complex_numIdEiS3_PKPS3_S4_S6_EEv18rocblas_operation_S7_T0_S8_S8_T1_T2_lS8_S8_lT3_lS8_S8_lS9_T4_lS8_S8_l.has_indirect_call, 0
	.section	.AMDGPU.csdata,"",@progbits
; Kernel info:
; codeLenInByte = 4
; TotalNumSgprs: 4
; NumVgprs: 0
; ScratchSize: 0
; MemoryBound: 0
; FloatMode: 240
; IeeeMode: 1
; LDSByteSize: 0 bytes/workgroup (compile time only)
; SGPRBlocks: 0
; VGPRBlocks: 0
; NumSGPRsForWavesPerEU: 4
; NumVGPRsForWavesPerEU: 1
; Occupancy: 10
; WaveLimiterHint : 0
; COMPUTE_PGM_RSRC2:SCRATCH_EN: 0
; COMPUTE_PGM_RSRC2:USER_SGPR: 6
; COMPUTE_PGM_RSRC2:TRAP_HANDLER: 0
; COMPUTE_PGM_RSRC2:TGID_X_EN: 1
; COMPUTE_PGM_RSRC2:TGID_Y_EN: 0
; COMPUTE_PGM_RSRC2:TGID_Z_EN: 0
; COMPUTE_PGM_RSRC2:TIDIG_COMP_CNT: 0
	.section	.text._ZN9rocsolver6v33100L11gemm_kernelI19rocblas_complex_numIdEiPKS3_PKPS3_S6_S8_EEvT0_S9_S9_T1_bT2_lS9_S9_lbT3_lS9_S9_lSA_T4_lS9_S9_l,"axG",@progbits,_ZN9rocsolver6v33100L11gemm_kernelI19rocblas_complex_numIdEiPKS3_PKPS3_S6_S8_EEvT0_S9_S9_T1_bT2_lS9_S9_lbT3_lS9_S9_lSA_T4_lS9_S9_l,comdat
	.globl	_ZN9rocsolver6v33100L11gemm_kernelI19rocblas_complex_numIdEiPKS3_PKPS3_S6_S8_EEvT0_S9_S9_T1_bT2_lS9_S9_lbT3_lS9_S9_lSA_T4_lS9_S9_l ; -- Begin function _ZN9rocsolver6v33100L11gemm_kernelI19rocblas_complex_numIdEiPKS3_PKPS3_S6_S8_EEvT0_S9_S9_T1_bT2_lS9_S9_lbT3_lS9_S9_lSA_T4_lS9_S9_l
	.p2align	8
	.type	_ZN9rocsolver6v33100L11gemm_kernelI19rocblas_complex_numIdEiPKS3_PKPS3_S6_S8_EEvT0_S9_S9_T1_bT2_lS9_S9_lbT3_lS9_S9_lSA_T4_lS9_S9_l,@function
_ZN9rocsolver6v33100L11gemm_kernelI19rocblas_complex_numIdEiPKS3_PKPS3_S6_S8_EEvT0_S9_S9_T1_bT2_lS9_S9_lbT3_lS9_S9_lSA_T4_lS9_S9_l: ; @_ZN9rocsolver6v33100L11gemm_kernelI19rocblas_complex_numIdEiPKS3_PKPS3_S6_S8_EEvT0_S9_S9_T1_bT2_lS9_S9_lbT3_lS9_S9_lSA_T4_lS9_S9_l
; %bb.0:
	s_load_dword s0, s[4:5], 0x9c
	s_load_dwordx4 s[20:23], s[4:5], 0x0
	s_waitcnt lgkmcnt(0)
	s_lshr_b32 s1, s0, 16
	s_and_b32 s0, s0, 0xffff
	s_mul_i32 s6, s6, s0
	s_mul_i32 s7, s7, s1
	v_add_u32_e32 v9, s6, v0
	v_add_u32_e32 v8, s7, v1
	v_cmp_gt_i32_e32 vcc, s20, v9
	v_cmp_gt_i32_e64 s[0:1], s21, v8
	s_and_b64 s[0:1], vcc, s[0:1]
	s_and_saveexec_b64 s[2:3], s[0:1]
	s_cbranch_execz .LBB15_6
; %bb.1:
	s_load_dwordx8 s[12:19], s[4:5], 0x60
	s_load_dwordx2 s[20:21], s[4:5], 0x10
	s_ashr_i32 s9, s8, 31
	s_lshl_b64 s[0:1], s[8:9], 3
	s_waitcnt lgkmcnt(0)
	s_add_u32 s2, s16, s0
	s_addc_u32 s3, s17, s1
	s_load_dwordx2 s[6:7], s[2:3], 0x0
	s_cmp_lt_i32 s22, 1
	s_cbranch_scc1 .LBB15_4
; %bb.2:
	s_load_dwordx4 s[28:31], s[4:5], 0x20
	s_load_dword s16, s[4:5], 0x18
	s_load_dwordx2 s[10:11], s[4:5], 0x30
	s_load_dword s23, s[4:5], 0x40
	s_waitcnt lgkmcnt(0)
	s_add_u32 s0, s28, s0
	s_addc_u32 s1, s29, s1
	s_load_dwordx2 s[2:3], s[0:1], 0x0
	v_mul_lo_u32 v0, v9, s10
	s_bitcmp1_b32 s16, 0
	s_cselect_b64 vcc, -1, 0
	s_bitcmp1_b32 s23, 0
	s_cselect_b64 s[0:1], -1, 0
	s_lshl_b64 s[28:29], s[30:31], 4
	v_ashrrev_i32_e32 v1, 31, v0
	v_lshlrev_b64 v[0:1], 4, v[0:1]
	s_waitcnt lgkmcnt(0)
	s_add_u32 s2, s2, s28
	s_load_dwordx4 s[24:27], s[4:5], 0x48
	s_load_dwordx2 s[16:17], s[4:5], 0x58
	s_addc_u32 s3, s3, s29
	v_mov_b32_e32 v3, s3
	v_add_co_u32_e64 v4, s[2:3], s2, v0
	v_addc_co_u32_e64 v5, s[2:3], v3, v1, s[2:3]
	s_ashr_i32 s3, s11, 31
	s_mov_b32 s2, s11
	s_lshl_b64 s[10:11], s[2:3], 4
	s_mul_i32 s2, s12, s9
	s_mul_hi_u32 s3, s12, s8
	s_waitcnt lgkmcnt(0)
	v_mul_lo_u32 v2, v8, s17
	s_add_i32 s2, s3, s2
	s_mul_i32 s3, s13, s8
	s_add_i32 s3, s2, s3
	s_mul_i32 s2, s12, s8
	s_lshl_b64 s[2:3], s[2:3], 4
	s_lshl_b64 s[8:9], s[26:27], 4
	s_add_u32 s2, s2, s8
	s_addc_u32 s3, s3, s9
	v_ashrrev_i32_e32 v3, 31, v2
	v_lshlrev_b64 v[0:1], 4, v[2:3]
	s_add_u32 s2, s24, s2
	s_addc_u32 s3, s25, s3
	v_mov_b32_e32 v2, s3
	v_add_co_u32_e64 v0, s[2:3], s2, v0
	v_addc_co_u32_e64 v1, s[2:3], v2, v1, s[2:3]
	v_add_co_u32_e64 v6, s[2:3], 8, v0
	s_ashr_i32 s17, s16, 31
	v_addc_co_u32_e64 v7, s[2:3], 0, v1, s[2:3]
	s_lshl_b64 s[8:9], s[16:17], 4
	v_mov_b32_e32 v0, 0
	v_mov_b32_e32 v2, 0
	;; [unrolled: 1-line block ×6, first 2 shown]
.LBB15_3:                               ; =>This Inner Loop Header: Depth=1
	flat_load_dwordx4 v[12:15], v[4:5]
	global_load_dwordx4 v[16:19], v[6:7], off offset:-8
	v_add_co_u32_e64 v4, s[2:3], s10, v4
	v_addc_co_u32_e64 v5, s[2:3], v5, v10, s[2:3]
	s_add_i32 s22, s22, -1
	v_add_co_u32_e64 v6, s[2:3], s8, v6
	s_cmp_eq_u32 s22, 0
	v_addc_co_u32_e64 v7, s[2:3], v7, v11, s[2:3]
	s_waitcnt vmcnt(0) lgkmcnt(0)
	v_xor_b32_e32 v20, 0x80000000, v15
	v_xor_b32_e32 v21, 0x80000000, v19
	v_cndmask_b32_e32 v15, v15, v20, vcc
	v_cndmask_b32_e64 v19, v19, v21, s[0:1]
	v_mul_f64 v[20:21], v[14:15], v[18:19]
	v_mul_f64 v[14:15], v[14:15], v[16:17]
	v_fma_f64 v[20:21], v[12:13], v[16:17], -v[20:21]
	v_fma_f64 v[12:13], v[12:13], v[18:19], v[14:15]
	v_add_f64 v[2:3], v[2:3], v[20:21]
	v_add_f64 v[0:1], v[0:1], v[12:13]
	s_cbranch_scc0 .LBB15_3
	s_branch .LBB15_5
.LBB15_4:
	v_mov_b32_e32 v0, 0
	v_mov_b32_e32 v2, 0
	;; [unrolled: 1-line block ×4, first 2 shown]
.LBB15_5:
	s_load_dwordx4 s[8:11], s[20:21], 0x0
	s_load_dwordx4 s[0:3], s[14:15], 0x0
                                        ; kill: killed $sgpr20_sgpr21
                                        ; kill: killed $sgpr14_sgpr15
	s_nop 0
	s_load_dwordx2 s[4:5], s[4:5], 0x80
	s_lshl_b64 s[12:13], s[18:19], 4
	s_waitcnt lgkmcnt(0)
	v_mul_f64 v[10:11], s[10:11], v[0:1]
	v_mul_f64 v[0:1], s[8:9], v[0:1]
	v_mul_lo_u32 v4, v9, s4
	v_mad_u64_u32 v[4:5], s[4:5], v8, s5, v[4:5]
	s_add_u32 s4, s6, s12
	s_addc_u32 s5, s7, s13
	v_ashrrev_i32_e32 v5, 31, v4
	v_lshlrev_b64 v[4:5], 4, v[4:5]
	v_mov_b32_e32 v6, s5
	v_add_co_u32_e32 v8, vcc, s4, v4
	v_addc_co_u32_e32 v9, vcc, v6, v5, vcc
	flat_load_dwordx4 v[4:7], v[8:9]
	v_fma_f64 v[10:11], s[8:9], v[2:3], -v[10:11]
	v_fma_f64 v[2:3], s[10:11], v[2:3], v[0:1]
	s_waitcnt vmcnt(0) lgkmcnt(0)
	v_mul_f64 v[12:13], s[2:3], v[6:7]
	v_mul_f64 v[6:7], s[0:1], v[6:7]
	v_fma_f64 v[0:1], s[0:1], v[4:5], -v[12:13]
	v_fma_f64 v[4:5], s[2:3], v[4:5], v[6:7]
	v_add_f64 v[0:1], v[10:11], v[0:1]
	v_add_f64 v[2:3], v[2:3], v[4:5]
	flat_store_dwordx4 v[8:9], v[0:3]
.LBB15_6:
	s_endpgm
	.section	.rodata,"a",@progbits
	.p2align	6, 0x0
	.amdhsa_kernel _ZN9rocsolver6v33100L11gemm_kernelI19rocblas_complex_numIdEiPKS3_PKPS3_S6_S8_EEvT0_S9_S9_T1_bT2_lS9_S9_lbT3_lS9_S9_lSA_T4_lS9_S9_l
		.amdhsa_group_segment_fixed_size 0
		.amdhsa_private_segment_fixed_size 0
		.amdhsa_kernarg_size 400
		.amdhsa_user_sgpr_count 6
		.amdhsa_user_sgpr_private_segment_buffer 1
		.amdhsa_user_sgpr_dispatch_ptr 0
		.amdhsa_user_sgpr_queue_ptr 0
		.amdhsa_user_sgpr_kernarg_segment_ptr 1
		.amdhsa_user_sgpr_dispatch_id 0
		.amdhsa_user_sgpr_flat_scratch_init 0
		.amdhsa_user_sgpr_private_segment_size 0
		.amdhsa_uses_dynamic_stack 0
		.amdhsa_system_sgpr_private_segment_wavefront_offset 0
		.amdhsa_system_sgpr_workgroup_id_x 1
		.amdhsa_system_sgpr_workgroup_id_y 1
		.amdhsa_system_sgpr_workgroup_id_z 1
		.amdhsa_system_sgpr_workgroup_info 0
		.amdhsa_system_vgpr_workitem_id 1
		.amdhsa_next_free_vgpr 22
		.amdhsa_next_free_sgpr 32
		.amdhsa_reserve_vcc 1
		.amdhsa_reserve_flat_scratch 0
		.amdhsa_float_round_mode_32 0
		.amdhsa_float_round_mode_16_64 0
		.amdhsa_float_denorm_mode_32 3
		.amdhsa_float_denorm_mode_16_64 3
		.amdhsa_dx10_clamp 1
		.amdhsa_ieee_mode 1
		.amdhsa_fp16_overflow 0
		.amdhsa_exception_fp_ieee_invalid_op 0
		.amdhsa_exception_fp_denorm_src 0
		.amdhsa_exception_fp_ieee_div_zero 0
		.amdhsa_exception_fp_ieee_overflow 0
		.amdhsa_exception_fp_ieee_underflow 0
		.amdhsa_exception_fp_ieee_inexact 0
		.amdhsa_exception_int_div_zero 0
	.end_amdhsa_kernel
	.section	.text._ZN9rocsolver6v33100L11gemm_kernelI19rocblas_complex_numIdEiPKS3_PKPS3_S6_S8_EEvT0_S9_S9_T1_bT2_lS9_S9_lbT3_lS9_S9_lSA_T4_lS9_S9_l,"axG",@progbits,_ZN9rocsolver6v33100L11gemm_kernelI19rocblas_complex_numIdEiPKS3_PKPS3_S6_S8_EEvT0_S9_S9_T1_bT2_lS9_S9_lbT3_lS9_S9_lSA_T4_lS9_S9_l,comdat
.Lfunc_end15:
	.size	_ZN9rocsolver6v33100L11gemm_kernelI19rocblas_complex_numIdEiPKS3_PKPS3_S6_S8_EEvT0_S9_S9_T1_bT2_lS9_S9_lbT3_lS9_S9_lSA_T4_lS9_S9_l, .Lfunc_end15-_ZN9rocsolver6v33100L11gemm_kernelI19rocblas_complex_numIdEiPKS3_PKPS3_S6_S8_EEvT0_S9_S9_T1_bT2_lS9_S9_lbT3_lS9_S9_lSA_T4_lS9_S9_l
                                        ; -- End function
	.set _ZN9rocsolver6v33100L11gemm_kernelI19rocblas_complex_numIdEiPKS3_PKPS3_S6_S8_EEvT0_S9_S9_T1_bT2_lS9_S9_lbT3_lS9_S9_lSA_T4_lS9_S9_l.num_vgpr, 22
	.set _ZN9rocsolver6v33100L11gemm_kernelI19rocblas_complex_numIdEiPKS3_PKPS3_S6_S8_EEvT0_S9_S9_T1_bT2_lS9_S9_lbT3_lS9_S9_lSA_T4_lS9_S9_l.num_agpr, 0
	.set _ZN9rocsolver6v33100L11gemm_kernelI19rocblas_complex_numIdEiPKS3_PKPS3_S6_S8_EEvT0_S9_S9_T1_bT2_lS9_S9_lbT3_lS9_S9_lSA_T4_lS9_S9_l.numbered_sgpr, 32
	.set _ZN9rocsolver6v33100L11gemm_kernelI19rocblas_complex_numIdEiPKS3_PKPS3_S6_S8_EEvT0_S9_S9_T1_bT2_lS9_S9_lbT3_lS9_S9_lSA_T4_lS9_S9_l.num_named_barrier, 0
	.set _ZN9rocsolver6v33100L11gemm_kernelI19rocblas_complex_numIdEiPKS3_PKPS3_S6_S8_EEvT0_S9_S9_T1_bT2_lS9_S9_lbT3_lS9_S9_lSA_T4_lS9_S9_l.private_seg_size, 0
	.set _ZN9rocsolver6v33100L11gemm_kernelI19rocblas_complex_numIdEiPKS3_PKPS3_S6_S8_EEvT0_S9_S9_T1_bT2_lS9_S9_lbT3_lS9_S9_lSA_T4_lS9_S9_l.uses_vcc, 1
	.set _ZN9rocsolver6v33100L11gemm_kernelI19rocblas_complex_numIdEiPKS3_PKPS3_S6_S8_EEvT0_S9_S9_T1_bT2_lS9_S9_lbT3_lS9_S9_lSA_T4_lS9_S9_l.uses_flat_scratch, 0
	.set _ZN9rocsolver6v33100L11gemm_kernelI19rocblas_complex_numIdEiPKS3_PKPS3_S6_S8_EEvT0_S9_S9_T1_bT2_lS9_S9_lbT3_lS9_S9_lSA_T4_lS9_S9_l.has_dyn_sized_stack, 0
	.set _ZN9rocsolver6v33100L11gemm_kernelI19rocblas_complex_numIdEiPKS3_PKPS3_S6_S8_EEvT0_S9_S9_T1_bT2_lS9_S9_lbT3_lS9_S9_lSA_T4_lS9_S9_l.has_recursion, 0
	.set _ZN9rocsolver6v33100L11gemm_kernelI19rocblas_complex_numIdEiPKS3_PKPS3_S6_S8_EEvT0_S9_S9_T1_bT2_lS9_S9_lbT3_lS9_S9_lSA_T4_lS9_S9_l.has_indirect_call, 0
	.section	.AMDGPU.csdata,"",@progbits
; Kernel info:
; codeLenInByte = 764
; TotalNumSgprs: 36
; NumVgprs: 22
; ScratchSize: 0
; MemoryBound: 0
; FloatMode: 240
; IeeeMode: 1
; LDSByteSize: 0 bytes/workgroup (compile time only)
; SGPRBlocks: 4
; VGPRBlocks: 5
; NumSGPRsForWavesPerEU: 36
; NumVGPRsForWavesPerEU: 22
; Occupancy: 10
; WaveLimiterHint : 1
; COMPUTE_PGM_RSRC2:SCRATCH_EN: 0
; COMPUTE_PGM_RSRC2:USER_SGPR: 6
; COMPUTE_PGM_RSRC2:TRAP_HANDLER: 0
; COMPUTE_PGM_RSRC2:TGID_X_EN: 1
; COMPUTE_PGM_RSRC2:TGID_Y_EN: 1
; COMPUTE_PGM_RSRC2:TGID_Z_EN: 1
; COMPUTE_PGM_RSRC2:TIDIG_COMP_CNT: 1
	.section	.text._ZN9rocsolver6v33100L11gemm_kernelI19rocblas_complex_numIdEiS3_PKPS3_S4_S6_EEvT0_S7_S7_T1_bT2_lS7_S7_lbT3_lS7_S7_lS8_T4_lS7_S7_l,"axG",@progbits,_ZN9rocsolver6v33100L11gemm_kernelI19rocblas_complex_numIdEiS3_PKPS3_S4_S6_EEvT0_S7_S7_T1_bT2_lS7_S7_lbT3_lS7_S7_lS8_T4_lS7_S7_l,comdat
	.globl	_ZN9rocsolver6v33100L11gemm_kernelI19rocblas_complex_numIdEiS3_PKPS3_S4_S6_EEvT0_S7_S7_T1_bT2_lS7_S7_lbT3_lS7_S7_lS8_T4_lS7_S7_l ; -- Begin function _ZN9rocsolver6v33100L11gemm_kernelI19rocblas_complex_numIdEiS3_PKPS3_S4_S6_EEvT0_S7_S7_T1_bT2_lS7_S7_lbT3_lS7_S7_lS8_T4_lS7_S7_l
	.p2align	8
	.type	_ZN9rocsolver6v33100L11gemm_kernelI19rocblas_complex_numIdEiS3_PKPS3_S4_S6_EEvT0_S7_S7_T1_bT2_lS7_S7_lbT3_lS7_S7_lS8_T4_lS7_S7_l,@function
_ZN9rocsolver6v33100L11gemm_kernelI19rocblas_complex_numIdEiS3_PKPS3_S4_S6_EEvT0_S7_S7_T1_bT2_lS7_S7_lbT3_lS7_S7_lS8_T4_lS7_S7_l: ; @_ZN9rocsolver6v33100L11gemm_kernelI19rocblas_complex_numIdEiS3_PKPS3_S4_S6_EEvT0_S7_S7_T1_bT2_lS7_S7_lbT3_lS7_S7_lS8_T4_lS7_S7_l
; %bb.0:
	s_load_dword s0, s[4:5], 0xac
	s_load_dwordx4 s[20:23], s[4:5], 0x0
	s_waitcnt lgkmcnt(0)
	s_lshr_b32 s1, s0, 16
	s_and_b32 s0, s0, 0xffff
	s_mul_i32 s6, s6, s0
	s_mul_i32 s7, s7, s1
	v_add_u32_e32 v9, s6, v0
	v_add_u32_e32 v8, s7, v1
	v_cmp_gt_i32_e32 vcc, s20, v9
	v_cmp_gt_i32_e64 s[0:1], s21, v8
	s_and_b64 s[0:1], vcc, s[0:1]
	s_and_saveexec_b64 s[2:3], s[0:1]
	s_cbranch_execz .LBB16_6
; %bb.1:
	s_load_dwordx8 s[12:19], s[4:5], 0x68
	s_load_dwordx2 s[6:7], s[4:5], 0x88
	s_ashr_i32 s9, s8, 31
	s_lshl_b64 s[0:1], s[8:9], 3
	s_waitcnt lgkmcnt(0)
	s_add_u32 s2, s18, s0
	s_addc_u32 s3, s19, s1
	s_load_dwordx2 s[10:11], s[2:3], 0x0
	s_cmp_lt_i32 s22, 1
	s_cbranch_scc1 .LBB16_4
; %bb.2:
	s_load_dwordx4 s[28:31], s[4:5], 0x28
	s_load_dword s20, s[4:5], 0x20
	s_load_dwordx2 s[18:19], s[4:5], 0x38
	s_load_dword s23, s[4:5], 0x48
	s_waitcnt lgkmcnt(0)
	s_add_u32 s0, s28, s0
	s_addc_u32 s1, s29, s1
	s_load_dwordx2 s[2:3], s[0:1], 0x0
	v_mul_lo_u32 v0, v9, s18
	s_bitcmp1_b32 s20, 0
	s_cselect_b64 vcc, -1, 0
	s_bitcmp1_b32 s23, 0
	s_cselect_b64 s[0:1], -1, 0
	s_lshl_b64 s[28:29], s[30:31], 4
	v_ashrrev_i32_e32 v1, 31, v0
	v_lshlrev_b64 v[0:1], 4, v[0:1]
	s_waitcnt lgkmcnt(0)
	s_add_u32 s2, s2, s28
	s_load_dwordx4 s[24:27], s[4:5], 0x50
	s_load_dwordx2 s[20:21], s[4:5], 0x60
	s_addc_u32 s3, s3, s29
	v_mov_b32_e32 v3, s3
	v_add_co_u32_e64 v4, s[2:3], s2, v0
	v_addc_co_u32_e64 v5, s[2:3], v3, v1, s[2:3]
	s_ashr_i32 s3, s19, 31
	s_mov_b32 s2, s19
	s_lshl_b64 s[18:19], s[2:3], 4
	s_mul_i32 s2, s12, s9
	s_mul_hi_u32 s3, s12, s8
	s_waitcnt lgkmcnt(0)
	v_mul_lo_u32 v2, v8, s21
	s_add_i32 s2, s3, s2
	s_mul_i32 s3, s13, s8
	s_add_i32 s3, s2, s3
	s_mul_i32 s2, s12, s8
	s_lshl_b64 s[2:3], s[2:3], 4
	s_lshl_b64 s[8:9], s[26:27], 4
	s_add_u32 s2, s2, s8
	s_addc_u32 s3, s3, s9
	v_ashrrev_i32_e32 v3, 31, v2
	v_lshlrev_b64 v[0:1], 4, v[2:3]
	s_add_u32 s2, s24, s2
	s_addc_u32 s3, s25, s3
	v_mov_b32_e32 v2, s3
	v_add_co_u32_e64 v0, s[2:3], s2, v0
	v_addc_co_u32_e64 v1, s[2:3], v2, v1, s[2:3]
	v_add_co_u32_e64 v6, s[2:3], 8, v0
	s_ashr_i32 s21, s20, 31
	v_addc_co_u32_e64 v7, s[2:3], 0, v1, s[2:3]
	s_lshl_b64 s[8:9], s[20:21], 4
	v_mov_b32_e32 v0, 0
	v_mov_b32_e32 v2, 0
	;; [unrolled: 1-line block ×6, first 2 shown]
.LBB16_3:                               ; =>This Inner Loop Header: Depth=1
	flat_load_dwordx4 v[12:15], v[4:5]
	global_load_dwordx4 v[16:19], v[6:7], off offset:-8
	v_add_co_u32_e64 v4, s[2:3], s18, v4
	v_addc_co_u32_e64 v5, s[2:3], v5, v10, s[2:3]
	s_add_i32 s22, s22, -1
	v_add_co_u32_e64 v6, s[2:3], s8, v6
	s_cmp_eq_u32 s22, 0
	v_addc_co_u32_e64 v7, s[2:3], v7, v11, s[2:3]
	s_waitcnt vmcnt(0) lgkmcnt(0)
	v_xor_b32_e32 v20, 0x80000000, v15
	v_xor_b32_e32 v21, 0x80000000, v19
	v_cndmask_b32_e32 v15, v15, v20, vcc
	v_cndmask_b32_e64 v19, v19, v21, s[0:1]
	v_mul_f64 v[20:21], v[14:15], v[18:19]
	v_mul_f64 v[14:15], v[14:15], v[16:17]
	v_fma_f64 v[20:21], v[12:13], v[16:17], -v[20:21]
	v_fma_f64 v[12:13], v[12:13], v[18:19], v[14:15]
	v_add_f64 v[2:3], v[2:3], v[20:21]
	v_add_f64 v[0:1], v[0:1], v[12:13]
	s_cbranch_scc0 .LBB16_3
	s_branch .LBB16_5
.LBB16_4:
	v_mov_b32_e32 v0, 0
	v_mov_b32_e32 v2, 0
	;; [unrolled: 1-line block ×4, first 2 shown]
.LBB16_5:
	s_load_dwordx4 s[0:3], s[4:5], 0x10
	s_nop 0
	s_load_dwordx2 s[4:5], s[4:5], 0x90
	s_lshl_b64 s[6:7], s[6:7], 4
	s_waitcnt lgkmcnt(0)
	v_mul_f64 v[10:11], s[2:3], v[0:1]
	v_mul_lo_u32 v4, v9, s4
	v_mul_f64 v[0:1], s[0:1], v[0:1]
	v_mad_u64_u32 v[4:5], s[4:5], v8, s5, v[4:5]
	s_add_u32 s4, s10, s6
	s_addc_u32 s5, s11, s7
	v_ashrrev_i32_e32 v5, 31, v4
	v_lshlrev_b64 v[4:5], 4, v[4:5]
	v_mov_b32_e32 v6, s5
	v_add_co_u32_e32 v8, vcc, s4, v4
	v_addc_co_u32_e32 v9, vcc, v6, v5, vcc
	flat_load_dwordx4 v[4:7], v[8:9]
	v_fma_f64 v[10:11], s[0:1], v[2:3], -v[10:11]
	v_fma_f64 v[2:3], s[2:3], v[2:3], v[0:1]
	s_waitcnt vmcnt(0) lgkmcnt(0)
	v_mul_f64 v[12:13], s[16:17], v[6:7]
	v_mul_f64 v[6:7], s[14:15], v[6:7]
	v_fma_f64 v[0:1], s[14:15], v[4:5], -v[12:13]
	v_fma_f64 v[4:5], s[16:17], v[4:5], v[6:7]
	v_add_f64 v[0:1], v[10:11], v[0:1]
	v_add_f64 v[2:3], v[2:3], v[4:5]
	flat_store_dwordx4 v[8:9], v[0:3]
.LBB16_6:
	s_endpgm
	.section	.rodata,"a",@progbits
	.p2align	6, 0x0
	.amdhsa_kernel _ZN9rocsolver6v33100L11gemm_kernelI19rocblas_complex_numIdEiS3_PKPS3_S4_S6_EEvT0_S7_S7_T1_bT2_lS7_S7_lbT3_lS7_S7_lS8_T4_lS7_S7_l
		.amdhsa_group_segment_fixed_size 0
		.amdhsa_private_segment_fixed_size 0
		.amdhsa_kernarg_size 416
		.amdhsa_user_sgpr_count 6
		.amdhsa_user_sgpr_private_segment_buffer 1
		.amdhsa_user_sgpr_dispatch_ptr 0
		.amdhsa_user_sgpr_queue_ptr 0
		.amdhsa_user_sgpr_kernarg_segment_ptr 1
		.amdhsa_user_sgpr_dispatch_id 0
		.amdhsa_user_sgpr_flat_scratch_init 0
		.amdhsa_user_sgpr_private_segment_size 0
		.amdhsa_uses_dynamic_stack 0
		.amdhsa_system_sgpr_private_segment_wavefront_offset 0
		.amdhsa_system_sgpr_workgroup_id_x 1
		.amdhsa_system_sgpr_workgroup_id_y 1
		.amdhsa_system_sgpr_workgroup_id_z 1
		.amdhsa_system_sgpr_workgroup_info 0
		.amdhsa_system_vgpr_workitem_id 1
		.amdhsa_next_free_vgpr 22
		.amdhsa_next_free_sgpr 32
		.amdhsa_reserve_vcc 1
		.amdhsa_reserve_flat_scratch 0
		.amdhsa_float_round_mode_32 0
		.amdhsa_float_round_mode_16_64 0
		.amdhsa_float_denorm_mode_32 3
		.amdhsa_float_denorm_mode_16_64 3
		.amdhsa_dx10_clamp 1
		.amdhsa_ieee_mode 1
		.amdhsa_fp16_overflow 0
		.amdhsa_exception_fp_ieee_invalid_op 0
		.amdhsa_exception_fp_denorm_src 0
		.amdhsa_exception_fp_ieee_div_zero 0
		.amdhsa_exception_fp_ieee_overflow 0
		.amdhsa_exception_fp_ieee_underflow 0
		.amdhsa_exception_fp_ieee_inexact 0
		.amdhsa_exception_int_div_zero 0
	.end_amdhsa_kernel
	.section	.text._ZN9rocsolver6v33100L11gemm_kernelI19rocblas_complex_numIdEiS3_PKPS3_S4_S6_EEvT0_S7_S7_T1_bT2_lS7_S7_lbT3_lS7_S7_lS8_T4_lS7_S7_l,"axG",@progbits,_ZN9rocsolver6v33100L11gemm_kernelI19rocblas_complex_numIdEiS3_PKPS3_S4_S6_EEvT0_S7_S7_T1_bT2_lS7_S7_lbT3_lS7_S7_lS8_T4_lS7_S7_l,comdat
.Lfunc_end16:
	.size	_ZN9rocsolver6v33100L11gemm_kernelI19rocblas_complex_numIdEiS3_PKPS3_S4_S6_EEvT0_S7_S7_T1_bT2_lS7_S7_lbT3_lS7_S7_lS8_T4_lS7_S7_l, .Lfunc_end16-_ZN9rocsolver6v33100L11gemm_kernelI19rocblas_complex_numIdEiS3_PKPS3_S4_S6_EEvT0_S7_S7_T1_bT2_lS7_S7_lbT3_lS7_S7_lS8_T4_lS7_S7_l
                                        ; -- End function
	.set _ZN9rocsolver6v33100L11gemm_kernelI19rocblas_complex_numIdEiS3_PKPS3_S4_S6_EEvT0_S7_S7_T1_bT2_lS7_S7_lbT3_lS7_S7_lS8_T4_lS7_S7_l.num_vgpr, 22
	.set _ZN9rocsolver6v33100L11gemm_kernelI19rocblas_complex_numIdEiS3_PKPS3_S4_S6_EEvT0_S7_S7_T1_bT2_lS7_S7_lbT3_lS7_S7_lS8_T4_lS7_S7_l.num_agpr, 0
	.set _ZN9rocsolver6v33100L11gemm_kernelI19rocblas_complex_numIdEiS3_PKPS3_S4_S6_EEvT0_S7_S7_T1_bT2_lS7_S7_lbT3_lS7_S7_lS8_T4_lS7_S7_l.numbered_sgpr, 32
	.set _ZN9rocsolver6v33100L11gemm_kernelI19rocblas_complex_numIdEiS3_PKPS3_S4_S6_EEvT0_S7_S7_T1_bT2_lS7_S7_lbT3_lS7_S7_lS8_T4_lS7_S7_l.num_named_barrier, 0
	.set _ZN9rocsolver6v33100L11gemm_kernelI19rocblas_complex_numIdEiS3_PKPS3_S4_S6_EEvT0_S7_S7_T1_bT2_lS7_S7_lbT3_lS7_S7_lS8_T4_lS7_S7_l.private_seg_size, 0
	.set _ZN9rocsolver6v33100L11gemm_kernelI19rocblas_complex_numIdEiS3_PKPS3_S4_S6_EEvT0_S7_S7_T1_bT2_lS7_S7_lbT3_lS7_S7_lS8_T4_lS7_S7_l.uses_vcc, 1
	.set _ZN9rocsolver6v33100L11gemm_kernelI19rocblas_complex_numIdEiS3_PKPS3_S4_S6_EEvT0_S7_S7_T1_bT2_lS7_S7_lbT3_lS7_S7_lS8_T4_lS7_S7_l.uses_flat_scratch, 0
	.set _ZN9rocsolver6v33100L11gemm_kernelI19rocblas_complex_numIdEiS3_PKPS3_S4_S6_EEvT0_S7_S7_T1_bT2_lS7_S7_lbT3_lS7_S7_lS8_T4_lS7_S7_l.has_dyn_sized_stack, 0
	.set _ZN9rocsolver6v33100L11gemm_kernelI19rocblas_complex_numIdEiS3_PKPS3_S4_S6_EEvT0_S7_S7_T1_bT2_lS7_S7_lbT3_lS7_S7_lS8_T4_lS7_S7_l.has_recursion, 0
	.set _ZN9rocsolver6v33100L11gemm_kernelI19rocblas_complex_numIdEiS3_PKPS3_S4_S6_EEvT0_S7_S7_T1_bT2_lS7_S7_lbT3_lS7_S7_lS8_T4_lS7_S7_l.has_indirect_call, 0
	.section	.AMDGPU.csdata,"",@progbits
; Kernel info:
; codeLenInByte = 756
; TotalNumSgprs: 36
; NumVgprs: 22
; ScratchSize: 0
; MemoryBound: 0
; FloatMode: 240
; IeeeMode: 1
; LDSByteSize: 0 bytes/workgroup (compile time only)
; SGPRBlocks: 4
; VGPRBlocks: 5
; NumSGPRsForWavesPerEU: 36
; NumVGPRsForWavesPerEU: 22
; Occupancy: 10
; WaveLimiterHint : 1
; COMPUTE_PGM_RSRC2:SCRATCH_EN: 0
; COMPUTE_PGM_RSRC2:USER_SGPR: 6
; COMPUTE_PGM_RSRC2:TRAP_HANDLER: 0
; COMPUTE_PGM_RSRC2:TGID_X_EN: 1
; COMPUTE_PGM_RSRC2:TGID_Y_EN: 1
; COMPUTE_PGM_RSRC2:TGID_Z_EN: 1
; COMPUTE_PGM_RSRC2:TIDIG_COMP_CNT: 1
	.section	.text._ZN9rocsolver6v33100L16mfma_gemm_kernelI19rocblas_complex_numIdEiPKS3_PKPS3_S8_S6_EEv18rocblas_operation_S9_T0_SA_SA_T1_T2_lSA_SA_lT3_lSA_SA_lSB_T4_lSA_SA_l,"axG",@progbits,_ZN9rocsolver6v33100L16mfma_gemm_kernelI19rocblas_complex_numIdEiPKS3_PKPS3_S8_S6_EEv18rocblas_operation_S9_T0_SA_SA_T1_T2_lSA_SA_lT3_lSA_SA_lSB_T4_lSA_SA_l,comdat
	.globl	_ZN9rocsolver6v33100L16mfma_gemm_kernelI19rocblas_complex_numIdEiPKS3_PKPS3_S8_S6_EEv18rocblas_operation_S9_T0_SA_SA_T1_T2_lSA_SA_lT3_lSA_SA_lSB_T4_lSA_SA_l ; -- Begin function _ZN9rocsolver6v33100L16mfma_gemm_kernelI19rocblas_complex_numIdEiPKS3_PKPS3_S8_S6_EEv18rocblas_operation_S9_T0_SA_SA_T1_T2_lSA_SA_lT3_lSA_SA_lSB_T4_lSA_SA_l
	.p2align	8
	.type	_ZN9rocsolver6v33100L16mfma_gemm_kernelI19rocblas_complex_numIdEiPKS3_PKPS3_S8_S6_EEv18rocblas_operation_S9_T0_SA_SA_T1_T2_lSA_SA_lT3_lSA_SA_lSB_T4_lSA_SA_l,@function
_ZN9rocsolver6v33100L16mfma_gemm_kernelI19rocblas_complex_numIdEiPKS3_PKPS3_S8_S6_EEv18rocblas_operation_S9_T0_SA_SA_T1_T2_lSA_SA_lT3_lSA_SA_lSB_T4_lSA_SA_l: ; @_ZN9rocsolver6v33100L16mfma_gemm_kernelI19rocblas_complex_numIdEiPKS3_PKPS3_S8_S6_EEv18rocblas_operation_S9_T0_SA_SA_T1_T2_lSA_SA_lT3_lSA_SA_lSB_T4_lSA_SA_l
; %bb.0:
	s_endpgm
	.section	.rodata,"a",@progbits
	.p2align	6, 0x0
	.amdhsa_kernel _ZN9rocsolver6v33100L16mfma_gemm_kernelI19rocblas_complex_numIdEiPKS3_PKPS3_S8_S6_EEv18rocblas_operation_S9_T0_SA_SA_T1_T2_lSA_SA_lT3_lSA_SA_lSB_T4_lSA_SA_l
		.amdhsa_group_segment_fixed_size 0
		.amdhsa_private_segment_fixed_size 0
		.amdhsa_kernarg_size 136
		.amdhsa_user_sgpr_count 6
		.amdhsa_user_sgpr_private_segment_buffer 1
		.amdhsa_user_sgpr_dispatch_ptr 0
		.amdhsa_user_sgpr_queue_ptr 0
		.amdhsa_user_sgpr_kernarg_segment_ptr 1
		.amdhsa_user_sgpr_dispatch_id 0
		.amdhsa_user_sgpr_flat_scratch_init 0
		.amdhsa_user_sgpr_private_segment_size 0
		.amdhsa_uses_dynamic_stack 0
		.amdhsa_system_sgpr_private_segment_wavefront_offset 0
		.amdhsa_system_sgpr_workgroup_id_x 1
		.amdhsa_system_sgpr_workgroup_id_y 0
		.amdhsa_system_sgpr_workgroup_id_z 0
		.amdhsa_system_sgpr_workgroup_info 0
		.amdhsa_system_vgpr_workitem_id 0
		.amdhsa_next_free_vgpr 1
		.amdhsa_next_free_sgpr 0
		.amdhsa_reserve_vcc 0
		.amdhsa_reserve_flat_scratch 0
		.amdhsa_float_round_mode_32 0
		.amdhsa_float_round_mode_16_64 0
		.amdhsa_float_denorm_mode_32 3
		.amdhsa_float_denorm_mode_16_64 3
		.amdhsa_dx10_clamp 1
		.amdhsa_ieee_mode 1
		.amdhsa_fp16_overflow 0
		.amdhsa_exception_fp_ieee_invalid_op 0
		.amdhsa_exception_fp_denorm_src 0
		.amdhsa_exception_fp_ieee_div_zero 0
		.amdhsa_exception_fp_ieee_overflow 0
		.amdhsa_exception_fp_ieee_underflow 0
		.amdhsa_exception_fp_ieee_inexact 0
		.amdhsa_exception_int_div_zero 0
	.end_amdhsa_kernel
	.section	.text._ZN9rocsolver6v33100L16mfma_gemm_kernelI19rocblas_complex_numIdEiPKS3_PKPS3_S8_S6_EEv18rocblas_operation_S9_T0_SA_SA_T1_T2_lSA_SA_lT3_lSA_SA_lSB_T4_lSA_SA_l,"axG",@progbits,_ZN9rocsolver6v33100L16mfma_gemm_kernelI19rocblas_complex_numIdEiPKS3_PKPS3_S8_S6_EEv18rocblas_operation_S9_T0_SA_SA_T1_T2_lSA_SA_lT3_lSA_SA_lSB_T4_lSA_SA_l,comdat
.Lfunc_end17:
	.size	_ZN9rocsolver6v33100L16mfma_gemm_kernelI19rocblas_complex_numIdEiPKS3_PKPS3_S8_S6_EEv18rocblas_operation_S9_T0_SA_SA_T1_T2_lSA_SA_lT3_lSA_SA_lSB_T4_lSA_SA_l, .Lfunc_end17-_ZN9rocsolver6v33100L16mfma_gemm_kernelI19rocblas_complex_numIdEiPKS3_PKPS3_S8_S6_EEv18rocblas_operation_S9_T0_SA_SA_T1_T2_lSA_SA_lT3_lSA_SA_lSB_T4_lSA_SA_l
                                        ; -- End function
	.set _ZN9rocsolver6v33100L16mfma_gemm_kernelI19rocblas_complex_numIdEiPKS3_PKPS3_S8_S6_EEv18rocblas_operation_S9_T0_SA_SA_T1_T2_lSA_SA_lT3_lSA_SA_lSB_T4_lSA_SA_l.num_vgpr, 0
	.set _ZN9rocsolver6v33100L16mfma_gemm_kernelI19rocblas_complex_numIdEiPKS3_PKPS3_S8_S6_EEv18rocblas_operation_S9_T0_SA_SA_T1_T2_lSA_SA_lT3_lSA_SA_lSB_T4_lSA_SA_l.num_agpr, 0
	.set _ZN9rocsolver6v33100L16mfma_gemm_kernelI19rocblas_complex_numIdEiPKS3_PKPS3_S8_S6_EEv18rocblas_operation_S9_T0_SA_SA_T1_T2_lSA_SA_lT3_lSA_SA_lSB_T4_lSA_SA_l.numbered_sgpr, 0
	.set _ZN9rocsolver6v33100L16mfma_gemm_kernelI19rocblas_complex_numIdEiPKS3_PKPS3_S8_S6_EEv18rocblas_operation_S9_T0_SA_SA_T1_T2_lSA_SA_lT3_lSA_SA_lSB_T4_lSA_SA_l.num_named_barrier, 0
	.set _ZN9rocsolver6v33100L16mfma_gemm_kernelI19rocblas_complex_numIdEiPKS3_PKPS3_S8_S6_EEv18rocblas_operation_S9_T0_SA_SA_T1_T2_lSA_SA_lT3_lSA_SA_lSB_T4_lSA_SA_l.private_seg_size, 0
	.set _ZN9rocsolver6v33100L16mfma_gemm_kernelI19rocblas_complex_numIdEiPKS3_PKPS3_S8_S6_EEv18rocblas_operation_S9_T0_SA_SA_T1_T2_lSA_SA_lT3_lSA_SA_lSB_T4_lSA_SA_l.uses_vcc, 0
	.set _ZN9rocsolver6v33100L16mfma_gemm_kernelI19rocblas_complex_numIdEiPKS3_PKPS3_S8_S6_EEv18rocblas_operation_S9_T0_SA_SA_T1_T2_lSA_SA_lT3_lSA_SA_lSB_T4_lSA_SA_l.uses_flat_scratch, 0
	.set _ZN9rocsolver6v33100L16mfma_gemm_kernelI19rocblas_complex_numIdEiPKS3_PKPS3_S8_S6_EEv18rocblas_operation_S9_T0_SA_SA_T1_T2_lSA_SA_lT3_lSA_SA_lSB_T4_lSA_SA_l.has_dyn_sized_stack, 0
	.set _ZN9rocsolver6v33100L16mfma_gemm_kernelI19rocblas_complex_numIdEiPKS3_PKPS3_S8_S6_EEv18rocblas_operation_S9_T0_SA_SA_T1_T2_lSA_SA_lT3_lSA_SA_lSB_T4_lSA_SA_l.has_recursion, 0
	.set _ZN9rocsolver6v33100L16mfma_gemm_kernelI19rocblas_complex_numIdEiPKS3_PKPS3_S8_S6_EEv18rocblas_operation_S9_T0_SA_SA_T1_T2_lSA_SA_lT3_lSA_SA_lSB_T4_lSA_SA_l.has_indirect_call, 0
	.section	.AMDGPU.csdata,"",@progbits
; Kernel info:
; codeLenInByte = 4
; TotalNumSgprs: 4
; NumVgprs: 0
; ScratchSize: 0
; MemoryBound: 0
; FloatMode: 240
; IeeeMode: 1
; LDSByteSize: 0 bytes/workgroup (compile time only)
; SGPRBlocks: 0
; VGPRBlocks: 0
; NumSGPRsForWavesPerEU: 4
; NumVGPRsForWavesPerEU: 1
; Occupancy: 10
; WaveLimiterHint : 0
; COMPUTE_PGM_RSRC2:SCRATCH_EN: 0
; COMPUTE_PGM_RSRC2:USER_SGPR: 6
; COMPUTE_PGM_RSRC2:TRAP_HANDLER: 0
; COMPUTE_PGM_RSRC2:TGID_X_EN: 1
; COMPUTE_PGM_RSRC2:TGID_Y_EN: 0
; COMPUTE_PGM_RSRC2:TGID_Z_EN: 0
; COMPUTE_PGM_RSRC2:TIDIG_COMP_CNT: 0
	.section	.text._ZN9rocsolver6v33100L16mfma_gemm_kernelI19rocblas_complex_numIdEiS3_PKPS3_S6_S4_EEv18rocblas_operation_S7_T0_S8_S8_T1_T2_lS8_S8_lT3_lS8_S8_lS9_T4_lS8_S8_l,"axG",@progbits,_ZN9rocsolver6v33100L16mfma_gemm_kernelI19rocblas_complex_numIdEiS3_PKPS3_S6_S4_EEv18rocblas_operation_S7_T0_S8_S8_T1_T2_lS8_S8_lT3_lS8_S8_lS9_T4_lS8_S8_l,comdat
	.globl	_ZN9rocsolver6v33100L16mfma_gemm_kernelI19rocblas_complex_numIdEiS3_PKPS3_S6_S4_EEv18rocblas_operation_S7_T0_S8_S8_T1_T2_lS8_S8_lT3_lS8_S8_lS9_T4_lS8_S8_l ; -- Begin function _ZN9rocsolver6v33100L16mfma_gemm_kernelI19rocblas_complex_numIdEiS3_PKPS3_S6_S4_EEv18rocblas_operation_S7_T0_S8_S8_T1_T2_lS8_S8_lT3_lS8_S8_lS9_T4_lS8_S8_l
	.p2align	8
	.type	_ZN9rocsolver6v33100L16mfma_gemm_kernelI19rocblas_complex_numIdEiS3_PKPS3_S6_S4_EEv18rocblas_operation_S7_T0_S8_S8_T1_T2_lS8_S8_lT3_lS8_S8_lS9_T4_lS8_S8_l,@function
_ZN9rocsolver6v33100L16mfma_gemm_kernelI19rocblas_complex_numIdEiS3_PKPS3_S6_S4_EEv18rocblas_operation_S7_T0_S8_S8_T1_T2_lS8_S8_lT3_lS8_S8_lS9_T4_lS8_S8_l: ; @_ZN9rocsolver6v33100L16mfma_gemm_kernelI19rocblas_complex_numIdEiS3_PKPS3_S6_S4_EEv18rocblas_operation_S7_T0_S8_S8_T1_T2_lS8_S8_lT3_lS8_S8_lS9_T4_lS8_S8_l
; %bb.0:
	s_endpgm
	.section	.rodata,"a",@progbits
	.p2align	6, 0x0
	.amdhsa_kernel _ZN9rocsolver6v33100L16mfma_gemm_kernelI19rocblas_complex_numIdEiS3_PKPS3_S6_S4_EEv18rocblas_operation_S7_T0_S8_S8_T1_T2_lS8_S8_lT3_lS8_S8_lS9_T4_lS8_S8_l
		.amdhsa_group_segment_fixed_size 0
		.amdhsa_private_segment_fixed_size 0
		.amdhsa_kernarg_size 152
		.amdhsa_user_sgpr_count 6
		.amdhsa_user_sgpr_private_segment_buffer 1
		.amdhsa_user_sgpr_dispatch_ptr 0
		.amdhsa_user_sgpr_queue_ptr 0
		.amdhsa_user_sgpr_kernarg_segment_ptr 1
		.amdhsa_user_sgpr_dispatch_id 0
		.amdhsa_user_sgpr_flat_scratch_init 0
		.amdhsa_user_sgpr_private_segment_size 0
		.amdhsa_uses_dynamic_stack 0
		.amdhsa_system_sgpr_private_segment_wavefront_offset 0
		.amdhsa_system_sgpr_workgroup_id_x 1
		.amdhsa_system_sgpr_workgroup_id_y 0
		.amdhsa_system_sgpr_workgroup_id_z 0
		.amdhsa_system_sgpr_workgroup_info 0
		.amdhsa_system_vgpr_workitem_id 0
		.amdhsa_next_free_vgpr 1
		.amdhsa_next_free_sgpr 0
		.amdhsa_reserve_vcc 0
		.amdhsa_reserve_flat_scratch 0
		.amdhsa_float_round_mode_32 0
		.amdhsa_float_round_mode_16_64 0
		.amdhsa_float_denorm_mode_32 3
		.amdhsa_float_denorm_mode_16_64 3
		.amdhsa_dx10_clamp 1
		.amdhsa_ieee_mode 1
		.amdhsa_fp16_overflow 0
		.amdhsa_exception_fp_ieee_invalid_op 0
		.amdhsa_exception_fp_denorm_src 0
		.amdhsa_exception_fp_ieee_div_zero 0
		.amdhsa_exception_fp_ieee_overflow 0
		.amdhsa_exception_fp_ieee_underflow 0
		.amdhsa_exception_fp_ieee_inexact 0
		.amdhsa_exception_int_div_zero 0
	.end_amdhsa_kernel
	.section	.text._ZN9rocsolver6v33100L16mfma_gemm_kernelI19rocblas_complex_numIdEiS3_PKPS3_S6_S4_EEv18rocblas_operation_S7_T0_S8_S8_T1_T2_lS8_S8_lT3_lS8_S8_lS9_T4_lS8_S8_l,"axG",@progbits,_ZN9rocsolver6v33100L16mfma_gemm_kernelI19rocblas_complex_numIdEiS3_PKPS3_S6_S4_EEv18rocblas_operation_S7_T0_S8_S8_T1_T2_lS8_S8_lT3_lS8_S8_lS9_T4_lS8_S8_l,comdat
.Lfunc_end18:
	.size	_ZN9rocsolver6v33100L16mfma_gemm_kernelI19rocblas_complex_numIdEiS3_PKPS3_S6_S4_EEv18rocblas_operation_S7_T0_S8_S8_T1_T2_lS8_S8_lT3_lS8_S8_lS9_T4_lS8_S8_l, .Lfunc_end18-_ZN9rocsolver6v33100L16mfma_gemm_kernelI19rocblas_complex_numIdEiS3_PKPS3_S6_S4_EEv18rocblas_operation_S7_T0_S8_S8_T1_T2_lS8_S8_lT3_lS8_S8_lS9_T4_lS8_S8_l
                                        ; -- End function
	.set _ZN9rocsolver6v33100L16mfma_gemm_kernelI19rocblas_complex_numIdEiS3_PKPS3_S6_S4_EEv18rocblas_operation_S7_T0_S8_S8_T1_T2_lS8_S8_lT3_lS8_S8_lS9_T4_lS8_S8_l.num_vgpr, 0
	.set _ZN9rocsolver6v33100L16mfma_gemm_kernelI19rocblas_complex_numIdEiS3_PKPS3_S6_S4_EEv18rocblas_operation_S7_T0_S8_S8_T1_T2_lS8_S8_lT3_lS8_S8_lS9_T4_lS8_S8_l.num_agpr, 0
	.set _ZN9rocsolver6v33100L16mfma_gemm_kernelI19rocblas_complex_numIdEiS3_PKPS3_S6_S4_EEv18rocblas_operation_S7_T0_S8_S8_T1_T2_lS8_S8_lT3_lS8_S8_lS9_T4_lS8_S8_l.numbered_sgpr, 0
	.set _ZN9rocsolver6v33100L16mfma_gemm_kernelI19rocblas_complex_numIdEiS3_PKPS3_S6_S4_EEv18rocblas_operation_S7_T0_S8_S8_T1_T2_lS8_S8_lT3_lS8_S8_lS9_T4_lS8_S8_l.num_named_barrier, 0
	.set _ZN9rocsolver6v33100L16mfma_gemm_kernelI19rocblas_complex_numIdEiS3_PKPS3_S6_S4_EEv18rocblas_operation_S7_T0_S8_S8_T1_T2_lS8_S8_lT3_lS8_S8_lS9_T4_lS8_S8_l.private_seg_size, 0
	.set _ZN9rocsolver6v33100L16mfma_gemm_kernelI19rocblas_complex_numIdEiS3_PKPS3_S6_S4_EEv18rocblas_operation_S7_T0_S8_S8_T1_T2_lS8_S8_lT3_lS8_S8_lS9_T4_lS8_S8_l.uses_vcc, 0
	.set _ZN9rocsolver6v33100L16mfma_gemm_kernelI19rocblas_complex_numIdEiS3_PKPS3_S6_S4_EEv18rocblas_operation_S7_T0_S8_S8_T1_T2_lS8_S8_lT3_lS8_S8_lS9_T4_lS8_S8_l.uses_flat_scratch, 0
	.set _ZN9rocsolver6v33100L16mfma_gemm_kernelI19rocblas_complex_numIdEiS3_PKPS3_S6_S4_EEv18rocblas_operation_S7_T0_S8_S8_T1_T2_lS8_S8_lT3_lS8_S8_lS9_T4_lS8_S8_l.has_dyn_sized_stack, 0
	.set _ZN9rocsolver6v33100L16mfma_gemm_kernelI19rocblas_complex_numIdEiS3_PKPS3_S6_S4_EEv18rocblas_operation_S7_T0_S8_S8_T1_T2_lS8_S8_lT3_lS8_S8_lS9_T4_lS8_S8_l.has_recursion, 0
	.set _ZN9rocsolver6v33100L16mfma_gemm_kernelI19rocblas_complex_numIdEiS3_PKPS3_S6_S4_EEv18rocblas_operation_S7_T0_S8_S8_T1_T2_lS8_S8_lT3_lS8_S8_lS9_T4_lS8_S8_l.has_indirect_call, 0
	.section	.AMDGPU.csdata,"",@progbits
; Kernel info:
; codeLenInByte = 4
; TotalNumSgprs: 4
; NumVgprs: 0
; ScratchSize: 0
; MemoryBound: 0
; FloatMode: 240
; IeeeMode: 1
; LDSByteSize: 0 bytes/workgroup (compile time only)
; SGPRBlocks: 0
; VGPRBlocks: 0
; NumSGPRsForWavesPerEU: 4
; NumVGPRsForWavesPerEU: 1
; Occupancy: 10
; WaveLimiterHint : 0
; COMPUTE_PGM_RSRC2:SCRATCH_EN: 0
; COMPUTE_PGM_RSRC2:USER_SGPR: 6
; COMPUTE_PGM_RSRC2:TRAP_HANDLER: 0
; COMPUTE_PGM_RSRC2:TGID_X_EN: 1
; COMPUTE_PGM_RSRC2:TGID_Y_EN: 0
; COMPUTE_PGM_RSRC2:TGID_Z_EN: 0
; COMPUTE_PGM_RSRC2:TIDIG_COMP_CNT: 0
	.section	.text._ZN9rocsolver6v33100L11gemm_kernelI19rocblas_complex_numIdEiPKS3_PKPS3_S8_S6_EEvT0_S9_S9_T1_bT2_lS9_S9_lbT3_lS9_S9_lSA_T4_lS9_S9_l,"axG",@progbits,_ZN9rocsolver6v33100L11gemm_kernelI19rocblas_complex_numIdEiPKS3_PKPS3_S8_S6_EEvT0_S9_S9_T1_bT2_lS9_S9_lbT3_lS9_S9_lSA_T4_lS9_S9_l,comdat
	.globl	_ZN9rocsolver6v33100L11gemm_kernelI19rocblas_complex_numIdEiPKS3_PKPS3_S8_S6_EEvT0_S9_S9_T1_bT2_lS9_S9_lbT3_lS9_S9_lSA_T4_lS9_S9_l ; -- Begin function _ZN9rocsolver6v33100L11gemm_kernelI19rocblas_complex_numIdEiPKS3_PKPS3_S8_S6_EEvT0_S9_S9_T1_bT2_lS9_S9_lbT3_lS9_S9_lSA_T4_lS9_S9_l
	.p2align	8
	.type	_ZN9rocsolver6v33100L11gemm_kernelI19rocblas_complex_numIdEiPKS3_PKPS3_S8_S6_EEvT0_S9_S9_T1_bT2_lS9_S9_lbT3_lS9_S9_lSA_T4_lS9_S9_l,@function
_ZN9rocsolver6v33100L11gemm_kernelI19rocblas_complex_numIdEiPKS3_PKPS3_S8_S6_EEvT0_S9_S9_T1_bT2_lS9_S9_lbT3_lS9_S9_lSA_T4_lS9_S9_l: ; @_ZN9rocsolver6v33100L11gemm_kernelI19rocblas_complex_numIdEiPKS3_PKPS3_S8_S6_EEvT0_S9_S9_T1_bT2_lS9_S9_lbT3_lS9_S9_lSA_T4_lS9_S9_l
; %bb.0:
	s_load_dword s0, s[4:5], 0x9c
	s_load_dwordx4 s[16:19], s[4:5], 0x0
	s_waitcnt lgkmcnt(0)
	s_lshr_b32 s1, s0, 16
	s_and_b32 s0, s0, 0xffff
	s_mul_i32 s6, s6, s0
	s_mul_i32 s7, s7, s1
	v_add_u32_e32 v9, s6, v0
	v_add_u32_e32 v8, s7, v1
	v_cmp_gt_i32_e32 vcc, s16, v9
	v_cmp_gt_i32_e64 s[0:1], s17, v8
	s_and_b64 s[0:1], vcc, s[0:1]
	s_and_saveexec_b64 s[2:3], s[0:1]
	s_cbranch_execz .LBB19_6
; %bb.1:
	s_load_dwordx2 s[6:7], s[4:5], 0x78
	s_load_dwordx2 s[10:11], s[4:5], 0x10
	s_load_dwordx4 s[12:15], s[4:5], 0x68
	s_ashr_i32 s9, s8, 31
	s_cmp_lt_i32 s18, 1
	s_cbranch_scc1 .LBB19_4
; %bb.2:
	s_load_dword s19, s[4:5], 0x18
	s_load_dwordx4 s[20:23], s[4:5], 0x20
	s_load_dwordx2 s[24:25], s[4:5], 0x30
	s_load_dword s30, s[4:5], 0x40
	s_load_dwordx4 s[0:3], s[4:5], 0x48
	s_lshl_b64 s[16:17], s[8:9], 3
	s_waitcnt lgkmcnt(0)
	s_add_u32 s20, s20, s16
	s_addc_u32 s21, s21, s17
	s_load_dwordx2 s[26:27], s[20:21], 0x0
	s_load_dwordx2 s[28:29], s[4:5], 0x58
	s_add_u32 s0, s0, s16
	s_addc_u32 s1, s1, s17
	s_load_dwordx2 s[16:17], s[0:1], 0x0
	s_bitcmp1_b32 s19, 0
	s_waitcnt lgkmcnt(0)
	v_mul_lo_u32 v0, v8, s29
	s_cselect_b64 vcc, -1, 0
	s_bitcmp1_b32 s30, 0
	s_cselect_b64 s[0:1], -1, 0
	s_lshl_b64 s[2:3], s[2:3], 4
	v_ashrrev_i32_e32 v1, 31, v0
	v_mul_lo_u32 v2, v9, s24
	v_lshlrev_b64 v[0:1], 4, v[0:1]
	s_add_u32 s2, s16, s2
	s_addc_u32 s3, s17, s3
	v_mov_b32_e32 v3, s3
	v_add_co_u32_e64 v4, s[2:3], s2, v0
	v_addc_co_u32_e64 v5, s[2:3], v3, v1, s[2:3]
	s_ashr_i32 s29, s28, 31
	s_lshl_b64 s[16:17], s[28:29], 4
	s_lshl_b64 s[2:3], s[22:23], 4
	v_ashrrev_i32_e32 v3, 31, v2
	v_lshlrev_b64 v[0:1], 4, v[2:3]
	s_add_u32 s2, s26, s2
	s_addc_u32 s3, s27, s3
	v_mov_b32_e32 v2, s3
	v_add_co_u32_e64 v6, s[2:3], s2, v0
	v_addc_co_u32_e64 v7, s[2:3], v2, v1, s[2:3]
	s_ashr_i32 s3, s25, 31
	s_mov_b32 s2, s25
	s_lshl_b64 s[20:21], s[2:3], 4
	v_mov_b32_e32 v0, 0
	v_mov_b32_e32 v2, 0
	;; [unrolled: 1-line block ×6, first 2 shown]
.LBB19_3:                               ; =>This Inner Loop Header: Depth=1
	flat_load_dwordx4 v[12:15], v[6:7]
	flat_load_dwordx4 v[16:19], v[4:5]
	v_add_co_u32_e64 v4, s[2:3], s16, v4
	v_addc_co_u32_e64 v5, s[2:3], v5, v10, s[2:3]
	s_add_i32 s18, s18, -1
	v_add_co_u32_e64 v6, s[2:3], s20, v6
	s_cmp_eq_u32 s18, 0
	v_addc_co_u32_e64 v7, s[2:3], v7, v11, s[2:3]
	s_waitcnt vmcnt(0) lgkmcnt(0)
	v_xor_b32_e32 v20, 0x80000000, v15
	v_xor_b32_e32 v21, 0x80000000, v19
	v_cndmask_b32_e32 v15, v15, v20, vcc
	v_cndmask_b32_e64 v19, v19, v21, s[0:1]
	v_mul_f64 v[20:21], v[14:15], v[18:19]
	v_mul_f64 v[14:15], v[14:15], v[16:17]
	v_fma_f64 v[20:21], v[12:13], v[16:17], -v[20:21]
	v_fma_f64 v[12:13], v[12:13], v[18:19], v[14:15]
	v_add_f64 v[2:3], v[2:3], v[20:21]
	v_add_f64 v[0:1], v[0:1], v[12:13]
	s_cbranch_scc0 .LBB19_3
	s_branch .LBB19_5
.LBB19_4:
	v_mov_b32_e32 v0, 0
	v_mov_b32_e32 v2, 0
	;; [unrolled: 1-line block ×4, first 2 shown]
.LBB19_5:
	s_waitcnt lgkmcnt(0)
	s_load_dwordx4 s[16:19], s[10:11], 0x0
	s_load_dwordx4 s[0:3], s[12:13], 0x0
                                        ; kill: killed $sgpr12_sgpr13
                                        ; kill: killed $sgpr10_sgpr11
	s_load_dwordx4 s[20:23], s[4:5], 0x80
	s_waitcnt lgkmcnt(0)
	v_mul_f64 v[10:11], s[18:19], v[0:1]
	v_mul_f64 v[0:1], s[16:17], v[0:1]
	s_mul_i32 s5, s22, s9
	s_mul_hi_u32 s9, s22, s8
	s_mul_i32 s10, s23, s8
	v_mul_lo_u32 v4, v9, s20
	s_add_i32 s5, s9, s5
	s_mul_i32 s4, s22, s8
	s_add_i32 s5, s5, s10
	s_lshl_b64 s[4:5], s[4:5], 4
	s_add_u32 s8, s14, s4
	s_addc_u32 s9, s15, s5
	v_mad_u64_u32 v[4:5], s[4:5], v8, s21, v[4:5]
	s_lshl_b64 s[4:5], s[6:7], 4
	s_add_u32 s4, s8, s4
	v_ashrrev_i32_e32 v5, 31, v4
	v_lshlrev_b64 v[4:5], 4, v[4:5]
	s_addc_u32 s5, s9, s5
	v_mov_b32_e32 v6, s5
	v_add_co_u32_e32 v8, vcc, s4, v4
	v_addc_co_u32_e32 v9, vcc, v6, v5, vcc
	global_load_dwordx4 v[4:7], v[8:9], off
	v_fma_f64 v[10:11], s[16:17], v[2:3], -v[10:11]
	v_fma_f64 v[2:3], s[18:19], v[2:3], v[0:1]
	s_waitcnt vmcnt(0)
	v_mul_f64 v[12:13], s[2:3], v[6:7]
	v_mul_f64 v[6:7], s[0:1], v[6:7]
	v_fma_f64 v[0:1], s[0:1], v[4:5], -v[12:13]
	v_fma_f64 v[4:5], s[2:3], v[4:5], v[6:7]
	v_add_f64 v[0:1], v[10:11], v[0:1]
	v_add_f64 v[2:3], v[2:3], v[4:5]
	global_store_dwordx4 v[8:9], v[0:3], off
.LBB19_6:
	s_endpgm
	.section	.rodata,"a",@progbits
	.p2align	6, 0x0
	.amdhsa_kernel _ZN9rocsolver6v33100L11gemm_kernelI19rocblas_complex_numIdEiPKS3_PKPS3_S8_S6_EEvT0_S9_S9_T1_bT2_lS9_S9_lbT3_lS9_S9_lSA_T4_lS9_S9_l
		.amdhsa_group_segment_fixed_size 0
		.amdhsa_private_segment_fixed_size 0
		.amdhsa_kernarg_size 400
		.amdhsa_user_sgpr_count 6
		.amdhsa_user_sgpr_private_segment_buffer 1
		.amdhsa_user_sgpr_dispatch_ptr 0
		.amdhsa_user_sgpr_queue_ptr 0
		.amdhsa_user_sgpr_kernarg_segment_ptr 1
		.amdhsa_user_sgpr_dispatch_id 0
		.amdhsa_user_sgpr_flat_scratch_init 0
		.amdhsa_user_sgpr_private_segment_size 0
		.amdhsa_uses_dynamic_stack 0
		.amdhsa_system_sgpr_private_segment_wavefront_offset 0
		.amdhsa_system_sgpr_workgroup_id_x 1
		.amdhsa_system_sgpr_workgroup_id_y 1
		.amdhsa_system_sgpr_workgroup_id_z 1
		.amdhsa_system_sgpr_workgroup_info 0
		.amdhsa_system_vgpr_workitem_id 1
		.amdhsa_next_free_vgpr 22
		.amdhsa_next_free_sgpr 31
		.amdhsa_reserve_vcc 1
		.amdhsa_reserve_flat_scratch 0
		.amdhsa_float_round_mode_32 0
		.amdhsa_float_round_mode_16_64 0
		.amdhsa_float_denorm_mode_32 3
		.amdhsa_float_denorm_mode_16_64 3
		.amdhsa_dx10_clamp 1
		.amdhsa_ieee_mode 1
		.amdhsa_fp16_overflow 0
		.amdhsa_exception_fp_ieee_invalid_op 0
		.amdhsa_exception_fp_denorm_src 0
		.amdhsa_exception_fp_ieee_div_zero 0
		.amdhsa_exception_fp_ieee_overflow 0
		.amdhsa_exception_fp_ieee_underflow 0
		.amdhsa_exception_fp_ieee_inexact 0
		.amdhsa_exception_int_div_zero 0
	.end_amdhsa_kernel
	.section	.text._ZN9rocsolver6v33100L11gemm_kernelI19rocblas_complex_numIdEiPKS3_PKPS3_S8_S6_EEvT0_S9_S9_T1_bT2_lS9_S9_lbT3_lS9_S9_lSA_T4_lS9_S9_l,"axG",@progbits,_ZN9rocsolver6v33100L11gemm_kernelI19rocblas_complex_numIdEiPKS3_PKPS3_S8_S6_EEvT0_S9_S9_T1_bT2_lS9_S9_lbT3_lS9_S9_lSA_T4_lS9_S9_l,comdat
.Lfunc_end19:
	.size	_ZN9rocsolver6v33100L11gemm_kernelI19rocblas_complex_numIdEiPKS3_PKPS3_S8_S6_EEvT0_S9_S9_T1_bT2_lS9_S9_lbT3_lS9_S9_lSA_T4_lS9_S9_l, .Lfunc_end19-_ZN9rocsolver6v33100L11gemm_kernelI19rocblas_complex_numIdEiPKS3_PKPS3_S8_S6_EEvT0_S9_S9_T1_bT2_lS9_S9_lbT3_lS9_S9_lSA_T4_lS9_S9_l
                                        ; -- End function
	.set _ZN9rocsolver6v33100L11gemm_kernelI19rocblas_complex_numIdEiPKS3_PKPS3_S8_S6_EEvT0_S9_S9_T1_bT2_lS9_S9_lbT3_lS9_S9_lSA_T4_lS9_S9_l.num_vgpr, 22
	.set _ZN9rocsolver6v33100L11gemm_kernelI19rocblas_complex_numIdEiPKS3_PKPS3_S8_S6_EEvT0_S9_S9_T1_bT2_lS9_S9_lbT3_lS9_S9_lSA_T4_lS9_S9_l.num_agpr, 0
	.set _ZN9rocsolver6v33100L11gemm_kernelI19rocblas_complex_numIdEiPKS3_PKPS3_S8_S6_EEvT0_S9_S9_T1_bT2_lS9_S9_lbT3_lS9_S9_lSA_T4_lS9_S9_l.numbered_sgpr, 31
	.set _ZN9rocsolver6v33100L11gemm_kernelI19rocblas_complex_numIdEiPKS3_PKPS3_S8_S6_EEvT0_S9_S9_T1_bT2_lS9_S9_lbT3_lS9_S9_lSA_T4_lS9_S9_l.num_named_barrier, 0
	.set _ZN9rocsolver6v33100L11gemm_kernelI19rocblas_complex_numIdEiPKS3_PKPS3_S8_S6_EEvT0_S9_S9_T1_bT2_lS9_S9_lbT3_lS9_S9_lSA_T4_lS9_S9_l.private_seg_size, 0
	.set _ZN9rocsolver6v33100L11gemm_kernelI19rocblas_complex_numIdEiPKS3_PKPS3_S8_S6_EEvT0_S9_S9_T1_bT2_lS9_S9_lbT3_lS9_S9_lSA_T4_lS9_S9_l.uses_vcc, 1
	.set _ZN9rocsolver6v33100L11gemm_kernelI19rocblas_complex_numIdEiPKS3_PKPS3_S8_S6_EEvT0_S9_S9_T1_bT2_lS9_S9_lbT3_lS9_S9_lSA_T4_lS9_S9_l.uses_flat_scratch, 0
	.set _ZN9rocsolver6v33100L11gemm_kernelI19rocblas_complex_numIdEiPKS3_PKPS3_S8_S6_EEvT0_S9_S9_T1_bT2_lS9_S9_lbT3_lS9_S9_lSA_T4_lS9_S9_l.has_dyn_sized_stack, 0
	.set _ZN9rocsolver6v33100L11gemm_kernelI19rocblas_complex_numIdEiPKS3_PKPS3_S8_S6_EEvT0_S9_S9_T1_bT2_lS9_S9_lbT3_lS9_S9_lSA_T4_lS9_S9_l.has_recursion, 0
	.set _ZN9rocsolver6v33100L11gemm_kernelI19rocblas_complex_numIdEiPKS3_PKPS3_S8_S6_EEvT0_S9_S9_T1_bT2_lS9_S9_lbT3_lS9_S9_lSA_T4_lS9_S9_l.has_indirect_call, 0
	.section	.AMDGPU.csdata,"",@progbits
; Kernel info:
; codeLenInByte = 748
; TotalNumSgprs: 35
; NumVgprs: 22
; ScratchSize: 0
; MemoryBound: 0
; FloatMode: 240
; IeeeMode: 1
; LDSByteSize: 0 bytes/workgroup (compile time only)
; SGPRBlocks: 4
; VGPRBlocks: 5
; NumSGPRsForWavesPerEU: 35
; NumVGPRsForWavesPerEU: 22
; Occupancy: 10
; WaveLimiterHint : 1
; COMPUTE_PGM_RSRC2:SCRATCH_EN: 0
; COMPUTE_PGM_RSRC2:USER_SGPR: 6
; COMPUTE_PGM_RSRC2:TRAP_HANDLER: 0
; COMPUTE_PGM_RSRC2:TGID_X_EN: 1
; COMPUTE_PGM_RSRC2:TGID_Y_EN: 1
; COMPUTE_PGM_RSRC2:TGID_Z_EN: 1
; COMPUTE_PGM_RSRC2:TIDIG_COMP_CNT: 1
	.section	.text._ZN9rocsolver6v33100L11gemm_kernelI19rocblas_complex_numIdEiS3_PKPS3_S6_S4_EEvT0_S7_S7_T1_bT2_lS7_S7_lbT3_lS7_S7_lS8_T4_lS7_S7_l,"axG",@progbits,_ZN9rocsolver6v33100L11gemm_kernelI19rocblas_complex_numIdEiS3_PKPS3_S6_S4_EEvT0_S7_S7_T1_bT2_lS7_S7_lbT3_lS7_S7_lS8_T4_lS7_S7_l,comdat
	.globl	_ZN9rocsolver6v33100L11gemm_kernelI19rocblas_complex_numIdEiS3_PKPS3_S6_S4_EEvT0_S7_S7_T1_bT2_lS7_S7_lbT3_lS7_S7_lS8_T4_lS7_S7_l ; -- Begin function _ZN9rocsolver6v33100L11gemm_kernelI19rocblas_complex_numIdEiS3_PKPS3_S6_S4_EEvT0_S7_S7_T1_bT2_lS7_S7_lbT3_lS7_S7_lS8_T4_lS7_S7_l
	.p2align	8
	.type	_ZN9rocsolver6v33100L11gemm_kernelI19rocblas_complex_numIdEiS3_PKPS3_S6_S4_EEvT0_S7_S7_T1_bT2_lS7_S7_lbT3_lS7_S7_lS8_T4_lS7_S7_l,@function
_ZN9rocsolver6v33100L11gemm_kernelI19rocblas_complex_numIdEiS3_PKPS3_S6_S4_EEvT0_S7_S7_T1_bT2_lS7_S7_lbT3_lS7_S7_lS8_T4_lS7_S7_l: ; @_ZN9rocsolver6v33100L11gemm_kernelI19rocblas_complex_numIdEiS3_PKPS3_S6_S4_EEvT0_S7_S7_T1_bT2_lS7_S7_lbT3_lS7_S7_lS8_T4_lS7_S7_l
; %bb.0:
	s_load_dword s0, s[4:5], 0xac
	s_load_dwordx4 s[12:15], s[4:5], 0x0
	s_waitcnt lgkmcnt(0)
	s_lshr_b32 s1, s0, 16
	s_and_b32 s0, s0, 0xffff
	s_mul_i32 s6, s6, s0
	s_mul_i32 s7, s7, s1
	v_add_u32_e32 v9, s6, v0
	v_add_u32_e32 v8, s7, v1
	v_cmp_gt_i32_e32 vcc, s12, v9
	v_cmp_gt_i32_e64 s[0:1], s13, v8
	s_and_b64 s[0:1], vcc, s[0:1]
	s_and_saveexec_b64 s[2:3], s[0:1]
	s_cbranch_execz .LBB20_6
; %bb.1:
	s_ashr_i32 s9, s8, 31
	s_cmp_lt_i32 s14, 1
	s_cbranch_scc1 .LBB20_4
; %bb.2:
	s_load_dword s15, s[4:5], 0x20
	s_load_dwordx4 s[16:19], s[4:5], 0x28
	s_load_dwordx2 s[10:11], s[4:5], 0x38
	s_load_dword s22, s[4:5], 0x48
	s_load_dwordx4 s[0:3], s[4:5], 0x50
	s_lshl_b64 s[6:7], s[8:9], 3
	s_waitcnt lgkmcnt(0)
	s_add_u32 s12, s16, s6
	s_addc_u32 s13, s17, s7
	s_load_dwordx2 s[16:17], s[12:13], 0x0
	s_load_dwordx2 s[20:21], s[4:5], 0x60
	s_add_u32 s0, s0, s6
	s_addc_u32 s1, s1, s7
	s_load_dwordx2 s[6:7], s[0:1], 0x0
	s_bitcmp1_b32 s15, 0
	s_waitcnt lgkmcnt(0)
	v_mul_lo_u32 v0, v8, s21
	s_cselect_b64 vcc, -1, 0
	s_bitcmp1_b32 s22, 0
	s_cselect_b64 s[0:1], -1, 0
	s_lshl_b64 s[2:3], s[2:3], 4
	v_ashrrev_i32_e32 v1, 31, v0
	v_mul_lo_u32 v2, v9, s10
	v_lshlrev_b64 v[0:1], 4, v[0:1]
	s_add_u32 s2, s6, s2
	s_addc_u32 s3, s7, s3
	v_mov_b32_e32 v3, s3
	v_add_co_u32_e64 v4, s[2:3], s2, v0
	v_addc_co_u32_e64 v5, s[2:3], v3, v1, s[2:3]
	s_ashr_i32 s21, s20, 31
	s_lshl_b64 s[6:7], s[20:21], 4
	s_lshl_b64 s[2:3], s[18:19], 4
	v_ashrrev_i32_e32 v3, 31, v2
	v_lshlrev_b64 v[0:1], 4, v[2:3]
	s_add_u32 s2, s16, s2
	s_addc_u32 s3, s17, s3
	v_mov_b32_e32 v2, s3
	v_add_co_u32_e64 v6, s[2:3], s2, v0
	v_addc_co_u32_e64 v7, s[2:3], v2, v1, s[2:3]
	s_ashr_i32 s3, s11, 31
	s_mov_b32 s2, s11
	s_lshl_b64 s[10:11], s[2:3], 4
	v_mov_b32_e32 v0, 0
	v_mov_b32_e32 v2, 0
	;; [unrolled: 1-line block ×6, first 2 shown]
.LBB20_3:                               ; =>This Inner Loop Header: Depth=1
	flat_load_dwordx4 v[12:15], v[6:7]
	flat_load_dwordx4 v[16:19], v[4:5]
	v_add_co_u32_e64 v4, s[2:3], s6, v4
	v_addc_co_u32_e64 v5, s[2:3], v5, v10, s[2:3]
	s_add_i32 s14, s14, -1
	v_add_co_u32_e64 v6, s[2:3], s10, v6
	s_cmp_eq_u32 s14, 0
	v_addc_co_u32_e64 v7, s[2:3], v7, v11, s[2:3]
	s_waitcnt vmcnt(0) lgkmcnt(0)
	v_xor_b32_e32 v20, 0x80000000, v15
	v_xor_b32_e32 v21, 0x80000000, v19
	v_cndmask_b32_e32 v15, v15, v20, vcc
	v_cndmask_b32_e64 v19, v19, v21, s[0:1]
	v_mul_f64 v[20:21], v[14:15], v[18:19]
	v_mul_f64 v[14:15], v[14:15], v[16:17]
	v_fma_f64 v[20:21], v[12:13], v[16:17], -v[20:21]
	v_fma_f64 v[12:13], v[12:13], v[18:19], v[14:15]
	v_add_f64 v[2:3], v[2:3], v[20:21]
	v_add_f64 v[0:1], v[0:1], v[12:13]
	s_cbranch_scc0 .LBB20_3
	s_branch .LBB20_5
.LBB20_4:
	v_mov_b32_e32 v0, 0
	v_mov_b32_e32 v2, 0
	;; [unrolled: 1-line block ×4, first 2 shown]
.LBB20_5:
	s_load_dwordx8 s[12:19], s[4:5], 0x70
	s_load_dwordx4 s[0:3], s[4:5], 0x10
	s_nop 0
	s_load_dwordx4 s[4:7], s[4:5], 0x90
	s_waitcnt lgkmcnt(0)
	v_mul_f64 v[10:11], s[2:3], v[0:1]
	v_mul_lo_u32 v4, v9, s4
	s_mul_i32 s9, s6, s9
	s_mul_hi_u32 s10, s6, s8
	s_mul_i32 s7, s7, s8
	s_add_i32 s4, s10, s9
	s_add_i32 s7, s4, s7
	v_mad_u64_u32 v[4:5], s[4:5], v8, s5, v[4:5]
	s_mul_i32 s6, s6, s8
	s_lshl_b64 s[6:7], s[6:7], 4
	s_add_u32 s6, s16, s6
	s_addc_u32 s7, s17, s7
	s_lshl_b64 s[4:5], s[18:19], 4
	v_ashrrev_i32_e32 v5, 31, v4
	s_add_u32 s4, s6, s4
	v_lshlrev_b64 v[4:5], 4, v[4:5]
	s_addc_u32 s5, s7, s5
	v_mov_b32_e32 v6, s5
	v_add_co_u32_e32 v8, vcc, s4, v4
	v_addc_co_u32_e32 v9, vcc, v6, v5, vcc
	global_load_dwordx4 v[4:7], v[8:9], off
	v_mul_f64 v[0:1], s[0:1], v[0:1]
	v_fma_f64 v[10:11], s[0:1], v[2:3], -v[10:11]
	v_fma_f64 v[2:3], s[2:3], v[2:3], v[0:1]
	s_waitcnt vmcnt(0)
	v_mul_f64 v[12:13], s[14:15], v[6:7]
	v_mul_f64 v[6:7], s[12:13], v[6:7]
	v_fma_f64 v[0:1], s[12:13], v[4:5], -v[12:13]
	v_fma_f64 v[4:5], s[14:15], v[4:5], v[6:7]
	v_add_f64 v[0:1], v[10:11], v[0:1]
	v_add_f64 v[2:3], v[2:3], v[4:5]
	global_store_dwordx4 v[8:9], v[0:3], off
.LBB20_6:
	s_endpgm
	.section	.rodata,"a",@progbits
	.p2align	6, 0x0
	.amdhsa_kernel _ZN9rocsolver6v33100L11gemm_kernelI19rocblas_complex_numIdEiS3_PKPS3_S6_S4_EEvT0_S7_S7_T1_bT2_lS7_S7_lbT3_lS7_S7_lS8_T4_lS7_S7_l
		.amdhsa_group_segment_fixed_size 0
		.amdhsa_private_segment_fixed_size 0
		.amdhsa_kernarg_size 416
		.amdhsa_user_sgpr_count 6
		.amdhsa_user_sgpr_private_segment_buffer 1
		.amdhsa_user_sgpr_dispatch_ptr 0
		.amdhsa_user_sgpr_queue_ptr 0
		.amdhsa_user_sgpr_kernarg_segment_ptr 1
		.amdhsa_user_sgpr_dispatch_id 0
		.amdhsa_user_sgpr_flat_scratch_init 0
		.amdhsa_user_sgpr_private_segment_size 0
		.amdhsa_uses_dynamic_stack 0
		.amdhsa_system_sgpr_private_segment_wavefront_offset 0
		.amdhsa_system_sgpr_workgroup_id_x 1
		.amdhsa_system_sgpr_workgroup_id_y 1
		.amdhsa_system_sgpr_workgroup_id_z 1
		.amdhsa_system_sgpr_workgroup_info 0
		.amdhsa_system_vgpr_workitem_id 1
		.amdhsa_next_free_vgpr 22
		.amdhsa_next_free_sgpr 23
		.amdhsa_reserve_vcc 1
		.amdhsa_reserve_flat_scratch 0
		.amdhsa_float_round_mode_32 0
		.amdhsa_float_round_mode_16_64 0
		.amdhsa_float_denorm_mode_32 3
		.amdhsa_float_denorm_mode_16_64 3
		.amdhsa_dx10_clamp 1
		.amdhsa_ieee_mode 1
		.amdhsa_fp16_overflow 0
		.amdhsa_exception_fp_ieee_invalid_op 0
		.amdhsa_exception_fp_denorm_src 0
		.amdhsa_exception_fp_ieee_div_zero 0
		.amdhsa_exception_fp_ieee_overflow 0
		.amdhsa_exception_fp_ieee_underflow 0
		.amdhsa_exception_fp_ieee_inexact 0
		.amdhsa_exception_int_div_zero 0
	.end_amdhsa_kernel
	.section	.text._ZN9rocsolver6v33100L11gemm_kernelI19rocblas_complex_numIdEiS3_PKPS3_S6_S4_EEvT0_S7_S7_T1_bT2_lS7_S7_lbT3_lS7_S7_lS8_T4_lS7_S7_l,"axG",@progbits,_ZN9rocsolver6v33100L11gemm_kernelI19rocblas_complex_numIdEiS3_PKPS3_S6_S4_EEvT0_S7_S7_T1_bT2_lS7_S7_lbT3_lS7_S7_lS8_T4_lS7_S7_l,comdat
.Lfunc_end20:
	.size	_ZN9rocsolver6v33100L11gemm_kernelI19rocblas_complex_numIdEiS3_PKPS3_S6_S4_EEvT0_S7_S7_T1_bT2_lS7_S7_lbT3_lS7_S7_lS8_T4_lS7_S7_l, .Lfunc_end20-_ZN9rocsolver6v33100L11gemm_kernelI19rocblas_complex_numIdEiS3_PKPS3_S6_S4_EEvT0_S7_S7_T1_bT2_lS7_S7_lbT3_lS7_S7_lS8_T4_lS7_S7_l
                                        ; -- End function
	.set _ZN9rocsolver6v33100L11gemm_kernelI19rocblas_complex_numIdEiS3_PKPS3_S6_S4_EEvT0_S7_S7_T1_bT2_lS7_S7_lbT3_lS7_S7_lS8_T4_lS7_S7_l.num_vgpr, 22
	.set _ZN9rocsolver6v33100L11gemm_kernelI19rocblas_complex_numIdEiS3_PKPS3_S6_S4_EEvT0_S7_S7_T1_bT2_lS7_S7_lbT3_lS7_S7_lS8_T4_lS7_S7_l.num_agpr, 0
	.set _ZN9rocsolver6v33100L11gemm_kernelI19rocblas_complex_numIdEiS3_PKPS3_S6_S4_EEvT0_S7_S7_T1_bT2_lS7_S7_lbT3_lS7_S7_lS8_T4_lS7_S7_l.numbered_sgpr, 23
	.set _ZN9rocsolver6v33100L11gemm_kernelI19rocblas_complex_numIdEiS3_PKPS3_S6_S4_EEvT0_S7_S7_T1_bT2_lS7_S7_lbT3_lS7_S7_lS8_T4_lS7_S7_l.num_named_barrier, 0
	.set _ZN9rocsolver6v33100L11gemm_kernelI19rocblas_complex_numIdEiS3_PKPS3_S6_S4_EEvT0_S7_S7_T1_bT2_lS7_S7_lbT3_lS7_S7_lS8_T4_lS7_S7_l.private_seg_size, 0
	.set _ZN9rocsolver6v33100L11gemm_kernelI19rocblas_complex_numIdEiS3_PKPS3_S6_S4_EEvT0_S7_S7_T1_bT2_lS7_S7_lbT3_lS7_S7_lS8_T4_lS7_S7_l.uses_vcc, 1
	.set _ZN9rocsolver6v33100L11gemm_kernelI19rocblas_complex_numIdEiS3_PKPS3_S6_S4_EEvT0_S7_S7_T1_bT2_lS7_S7_lbT3_lS7_S7_lS8_T4_lS7_S7_l.uses_flat_scratch, 0
	.set _ZN9rocsolver6v33100L11gemm_kernelI19rocblas_complex_numIdEiS3_PKPS3_S6_S4_EEvT0_S7_S7_T1_bT2_lS7_S7_lbT3_lS7_S7_lS8_T4_lS7_S7_l.has_dyn_sized_stack, 0
	.set _ZN9rocsolver6v33100L11gemm_kernelI19rocblas_complex_numIdEiS3_PKPS3_S6_S4_EEvT0_S7_S7_T1_bT2_lS7_S7_lbT3_lS7_S7_lS8_T4_lS7_S7_l.has_recursion, 0
	.set _ZN9rocsolver6v33100L11gemm_kernelI19rocblas_complex_numIdEiS3_PKPS3_S6_S4_EEvT0_S7_S7_T1_bT2_lS7_S7_lbT3_lS7_S7_lS8_T4_lS7_S7_l.has_indirect_call, 0
	.section	.AMDGPU.csdata,"",@progbits
; Kernel info:
; codeLenInByte = 724
; TotalNumSgprs: 27
; NumVgprs: 22
; ScratchSize: 0
; MemoryBound: 0
; FloatMode: 240
; IeeeMode: 1
; LDSByteSize: 0 bytes/workgroup (compile time only)
; SGPRBlocks: 3
; VGPRBlocks: 5
; NumSGPRsForWavesPerEU: 27
; NumVGPRsForWavesPerEU: 22
; Occupancy: 10
; WaveLimiterHint : 1
; COMPUTE_PGM_RSRC2:SCRATCH_EN: 0
; COMPUTE_PGM_RSRC2:USER_SGPR: 6
; COMPUTE_PGM_RSRC2:TRAP_HANDLER: 0
; COMPUTE_PGM_RSRC2:TGID_X_EN: 1
; COMPUTE_PGM_RSRC2:TGID_Y_EN: 1
; COMPUTE_PGM_RSRC2:TGID_Z_EN: 1
; COMPUTE_PGM_RSRC2:TIDIG_COMP_CNT: 1
	.section	.text._ZN9rocsolver6v33100L16mfma_gemm_kernelI19rocblas_complex_numIdEiPKS3_PKPS3_S6_S6_EEv18rocblas_operation_S9_T0_SA_SA_T1_T2_lSA_SA_lT3_lSA_SA_lSB_T4_lSA_SA_l,"axG",@progbits,_ZN9rocsolver6v33100L16mfma_gemm_kernelI19rocblas_complex_numIdEiPKS3_PKPS3_S6_S6_EEv18rocblas_operation_S9_T0_SA_SA_T1_T2_lSA_SA_lT3_lSA_SA_lSB_T4_lSA_SA_l,comdat
	.globl	_ZN9rocsolver6v33100L16mfma_gemm_kernelI19rocblas_complex_numIdEiPKS3_PKPS3_S6_S6_EEv18rocblas_operation_S9_T0_SA_SA_T1_T2_lSA_SA_lT3_lSA_SA_lSB_T4_lSA_SA_l ; -- Begin function _ZN9rocsolver6v33100L16mfma_gemm_kernelI19rocblas_complex_numIdEiPKS3_PKPS3_S6_S6_EEv18rocblas_operation_S9_T0_SA_SA_T1_T2_lSA_SA_lT3_lSA_SA_lSB_T4_lSA_SA_l
	.p2align	8
	.type	_ZN9rocsolver6v33100L16mfma_gemm_kernelI19rocblas_complex_numIdEiPKS3_PKPS3_S6_S6_EEv18rocblas_operation_S9_T0_SA_SA_T1_T2_lSA_SA_lT3_lSA_SA_lSB_T4_lSA_SA_l,@function
_ZN9rocsolver6v33100L16mfma_gemm_kernelI19rocblas_complex_numIdEiPKS3_PKPS3_S6_S6_EEv18rocblas_operation_S9_T0_SA_SA_T1_T2_lSA_SA_lT3_lSA_SA_lSB_T4_lSA_SA_l: ; @_ZN9rocsolver6v33100L16mfma_gemm_kernelI19rocblas_complex_numIdEiPKS3_PKPS3_S6_S6_EEv18rocblas_operation_S9_T0_SA_SA_T1_T2_lSA_SA_lT3_lSA_SA_lSB_T4_lSA_SA_l
; %bb.0:
	s_endpgm
	.section	.rodata,"a",@progbits
	.p2align	6, 0x0
	.amdhsa_kernel _ZN9rocsolver6v33100L16mfma_gemm_kernelI19rocblas_complex_numIdEiPKS3_PKPS3_S6_S6_EEv18rocblas_operation_S9_T0_SA_SA_T1_T2_lSA_SA_lT3_lSA_SA_lSB_T4_lSA_SA_l
		.amdhsa_group_segment_fixed_size 0
		.amdhsa_private_segment_fixed_size 0
		.amdhsa_kernarg_size 136
		.amdhsa_user_sgpr_count 6
		.amdhsa_user_sgpr_private_segment_buffer 1
		.amdhsa_user_sgpr_dispatch_ptr 0
		.amdhsa_user_sgpr_queue_ptr 0
		.amdhsa_user_sgpr_kernarg_segment_ptr 1
		.amdhsa_user_sgpr_dispatch_id 0
		.amdhsa_user_sgpr_flat_scratch_init 0
		.amdhsa_user_sgpr_private_segment_size 0
		.amdhsa_uses_dynamic_stack 0
		.amdhsa_system_sgpr_private_segment_wavefront_offset 0
		.amdhsa_system_sgpr_workgroup_id_x 1
		.amdhsa_system_sgpr_workgroup_id_y 0
		.amdhsa_system_sgpr_workgroup_id_z 0
		.amdhsa_system_sgpr_workgroup_info 0
		.amdhsa_system_vgpr_workitem_id 0
		.amdhsa_next_free_vgpr 1
		.amdhsa_next_free_sgpr 0
		.amdhsa_reserve_vcc 0
		.amdhsa_reserve_flat_scratch 0
		.amdhsa_float_round_mode_32 0
		.amdhsa_float_round_mode_16_64 0
		.amdhsa_float_denorm_mode_32 3
		.amdhsa_float_denorm_mode_16_64 3
		.amdhsa_dx10_clamp 1
		.amdhsa_ieee_mode 1
		.amdhsa_fp16_overflow 0
		.amdhsa_exception_fp_ieee_invalid_op 0
		.amdhsa_exception_fp_denorm_src 0
		.amdhsa_exception_fp_ieee_div_zero 0
		.amdhsa_exception_fp_ieee_overflow 0
		.amdhsa_exception_fp_ieee_underflow 0
		.amdhsa_exception_fp_ieee_inexact 0
		.amdhsa_exception_int_div_zero 0
	.end_amdhsa_kernel
	.section	.text._ZN9rocsolver6v33100L16mfma_gemm_kernelI19rocblas_complex_numIdEiPKS3_PKPS3_S6_S6_EEv18rocblas_operation_S9_T0_SA_SA_T1_T2_lSA_SA_lT3_lSA_SA_lSB_T4_lSA_SA_l,"axG",@progbits,_ZN9rocsolver6v33100L16mfma_gemm_kernelI19rocblas_complex_numIdEiPKS3_PKPS3_S6_S6_EEv18rocblas_operation_S9_T0_SA_SA_T1_T2_lSA_SA_lT3_lSA_SA_lSB_T4_lSA_SA_l,comdat
.Lfunc_end21:
	.size	_ZN9rocsolver6v33100L16mfma_gemm_kernelI19rocblas_complex_numIdEiPKS3_PKPS3_S6_S6_EEv18rocblas_operation_S9_T0_SA_SA_T1_T2_lSA_SA_lT3_lSA_SA_lSB_T4_lSA_SA_l, .Lfunc_end21-_ZN9rocsolver6v33100L16mfma_gemm_kernelI19rocblas_complex_numIdEiPKS3_PKPS3_S6_S6_EEv18rocblas_operation_S9_T0_SA_SA_T1_T2_lSA_SA_lT3_lSA_SA_lSB_T4_lSA_SA_l
                                        ; -- End function
	.set _ZN9rocsolver6v33100L16mfma_gemm_kernelI19rocblas_complex_numIdEiPKS3_PKPS3_S6_S6_EEv18rocblas_operation_S9_T0_SA_SA_T1_T2_lSA_SA_lT3_lSA_SA_lSB_T4_lSA_SA_l.num_vgpr, 0
	.set _ZN9rocsolver6v33100L16mfma_gemm_kernelI19rocblas_complex_numIdEiPKS3_PKPS3_S6_S6_EEv18rocblas_operation_S9_T0_SA_SA_T1_T2_lSA_SA_lT3_lSA_SA_lSB_T4_lSA_SA_l.num_agpr, 0
	.set _ZN9rocsolver6v33100L16mfma_gemm_kernelI19rocblas_complex_numIdEiPKS3_PKPS3_S6_S6_EEv18rocblas_operation_S9_T0_SA_SA_T1_T2_lSA_SA_lT3_lSA_SA_lSB_T4_lSA_SA_l.numbered_sgpr, 0
	.set _ZN9rocsolver6v33100L16mfma_gemm_kernelI19rocblas_complex_numIdEiPKS3_PKPS3_S6_S6_EEv18rocblas_operation_S9_T0_SA_SA_T1_T2_lSA_SA_lT3_lSA_SA_lSB_T4_lSA_SA_l.num_named_barrier, 0
	.set _ZN9rocsolver6v33100L16mfma_gemm_kernelI19rocblas_complex_numIdEiPKS3_PKPS3_S6_S6_EEv18rocblas_operation_S9_T0_SA_SA_T1_T2_lSA_SA_lT3_lSA_SA_lSB_T4_lSA_SA_l.private_seg_size, 0
	.set _ZN9rocsolver6v33100L16mfma_gemm_kernelI19rocblas_complex_numIdEiPKS3_PKPS3_S6_S6_EEv18rocblas_operation_S9_T0_SA_SA_T1_T2_lSA_SA_lT3_lSA_SA_lSB_T4_lSA_SA_l.uses_vcc, 0
	.set _ZN9rocsolver6v33100L16mfma_gemm_kernelI19rocblas_complex_numIdEiPKS3_PKPS3_S6_S6_EEv18rocblas_operation_S9_T0_SA_SA_T1_T2_lSA_SA_lT3_lSA_SA_lSB_T4_lSA_SA_l.uses_flat_scratch, 0
	.set _ZN9rocsolver6v33100L16mfma_gemm_kernelI19rocblas_complex_numIdEiPKS3_PKPS3_S6_S6_EEv18rocblas_operation_S9_T0_SA_SA_T1_T2_lSA_SA_lT3_lSA_SA_lSB_T4_lSA_SA_l.has_dyn_sized_stack, 0
	.set _ZN9rocsolver6v33100L16mfma_gemm_kernelI19rocblas_complex_numIdEiPKS3_PKPS3_S6_S6_EEv18rocblas_operation_S9_T0_SA_SA_T1_T2_lSA_SA_lT3_lSA_SA_lSB_T4_lSA_SA_l.has_recursion, 0
	.set _ZN9rocsolver6v33100L16mfma_gemm_kernelI19rocblas_complex_numIdEiPKS3_PKPS3_S6_S6_EEv18rocblas_operation_S9_T0_SA_SA_T1_T2_lSA_SA_lT3_lSA_SA_lSB_T4_lSA_SA_l.has_indirect_call, 0
	.section	.AMDGPU.csdata,"",@progbits
; Kernel info:
; codeLenInByte = 4
; TotalNumSgprs: 4
; NumVgprs: 0
; ScratchSize: 0
; MemoryBound: 0
; FloatMode: 240
; IeeeMode: 1
; LDSByteSize: 0 bytes/workgroup (compile time only)
; SGPRBlocks: 0
; VGPRBlocks: 0
; NumSGPRsForWavesPerEU: 4
; NumVGPRsForWavesPerEU: 1
; Occupancy: 10
; WaveLimiterHint : 0
; COMPUTE_PGM_RSRC2:SCRATCH_EN: 0
; COMPUTE_PGM_RSRC2:USER_SGPR: 6
; COMPUTE_PGM_RSRC2:TRAP_HANDLER: 0
; COMPUTE_PGM_RSRC2:TGID_X_EN: 1
; COMPUTE_PGM_RSRC2:TGID_Y_EN: 0
; COMPUTE_PGM_RSRC2:TGID_Z_EN: 0
; COMPUTE_PGM_RSRC2:TIDIG_COMP_CNT: 0
	.section	.text._ZN9rocsolver6v33100L16mfma_gemm_kernelI19rocblas_complex_numIdEiS3_PKPS3_S4_S4_EEv18rocblas_operation_S7_T0_S8_S8_T1_T2_lS8_S8_lT3_lS8_S8_lS9_T4_lS8_S8_l,"axG",@progbits,_ZN9rocsolver6v33100L16mfma_gemm_kernelI19rocblas_complex_numIdEiS3_PKPS3_S4_S4_EEv18rocblas_operation_S7_T0_S8_S8_T1_T2_lS8_S8_lT3_lS8_S8_lS9_T4_lS8_S8_l,comdat
	.globl	_ZN9rocsolver6v33100L16mfma_gemm_kernelI19rocblas_complex_numIdEiS3_PKPS3_S4_S4_EEv18rocblas_operation_S7_T0_S8_S8_T1_T2_lS8_S8_lT3_lS8_S8_lS9_T4_lS8_S8_l ; -- Begin function _ZN9rocsolver6v33100L16mfma_gemm_kernelI19rocblas_complex_numIdEiS3_PKPS3_S4_S4_EEv18rocblas_operation_S7_T0_S8_S8_T1_T2_lS8_S8_lT3_lS8_S8_lS9_T4_lS8_S8_l
	.p2align	8
	.type	_ZN9rocsolver6v33100L16mfma_gemm_kernelI19rocblas_complex_numIdEiS3_PKPS3_S4_S4_EEv18rocblas_operation_S7_T0_S8_S8_T1_T2_lS8_S8_lT3_lS8_S8_lS9_T4_lS8_S8_l,@function
_ZN9rocsolver6v33100L16mfma_gemm_kernelI19rocblas_complex_numIdEiS3_PKPS3_S4_S4_EEv18rocblas_operation_S7_T0_S8_S8_T1_T2_lS8_S8_lT3_lS8_S8_lS9_T4_lS8_S8_l: ; @_ZN9rocsolver6v33100L16mfma_gemm_kernelI19rocblas_complex_numIdEiS3_PKPS3_S4_S4_EEv18rocblas_operation_S7_T0_S8_S8_T1_T2_lS8_S8_lT3_lS8_S8_lS9_T4_lS8_S8_l
; %bb.0:
	s_endpgm
	.section	.rodata,"a",@progbits
	.p2align	6, 0x0
	.amdhsa_kernel _ZN9rocsolver6v33100L16mfma_gemm_kernelI19rocblas_complex_numIdEiS3_PKPS3_S4_S4_EEv18rocblas_operation_S7_T0_S8_S8_T1_T2_lS8_S8_lT3_lS8_S8_lS9_T4_lS8_S8_l
		.amdhsa_group_segment_fixed_size 0
		.amdhsa_private_segment_fixed_size 0
		.amdhsa_kernarg_size 152
		.amdhsa_user_sgpr_count 6
		.amdhsa_user_sgpr_private_segment_buffer 1
		.amdhsa_user_sgpr_dispatch_ptr 0
		.amdhsa_user_sgpr_queue_ptr 0
		.amdhsa_user_sgpr_kernarg_segment_ptr 1
		.amdhsa_user_sgpr_dispatch_id 0
		.amdhsa_user_sgpr_flat_scratch_init 0
		.amdhsa_user_sgpr_private_segment_size 0
		.amdhsa_uses_dynamic_stack 0
		.amdhsa_system_sgpr_private_segment_wavefront_offset 0
		.amdhsa_system_sgpr_workgroup_id_x 1
		.amdhsa_system_sgpr_workgroup_id_y 0
		.amdhsa_system_sgpr_workgroup_id_z 0
		.amdhsa_system_sgpr_workgroup_info 0
		.amdhsa_system_vgpr_workitem_id 0
		.amdhsa_next_free_vgpr 1
		.amdhsa_next_free_sgpr 0
		.amdhsa_reserve_vcc 0
		.amdhsa_reserve_flat_scratch 0
		.amdhsa_float_round_mode_32 0
		.amdhsa_float_round_mode_16_64 0
		.amdhsa_float_denorm_mode_32 3
		.amdhsa_float_denorm_mode_16_64 3
		.amdhsa_dx10_clamp 1
		.amdhsa_ieee_mode 1
		.amdhsa_fp16_overflow 0
		.amdhsa_exception_fp_ieee_invalid_op 0
		.amdhsa_exception_fp_denorm_src 0
		.amdhsa_exception_fp_ieee_div_zero 0
		.amdhsa_exception_fp_ieee_overflow 0
		.amdhsa_exception_fp_ieee_underflow 0
		.amdhsa_exception_fp_ieee_inexact 0
		.amdhsa_exception_int_div_zero 0
	.end_amdhsa_kernel
	.section	.text._ZN9rocsolver6v33100L16mfma_gemm_kernelI19rocblas_complex_numIdEiS3_PKPS3_S4_S4_EEv18rocblas_operation_S7_T0_S8_S8_T1_T2_lS8_S8_lT3_lS8_S8_lS9_T4_lS8_S8_l,"axG",@progbits,_ZN9rocsolver6v33100L16mfma_gemm_kernelI19rocblas_complex_numIdEiS3_PKPS3_S4_S4_EEv18rocblas_operation_S7_T0_S8_S8_T1_T2_lS8_S8_lT3_lS8_S8_lS9_T4_lS8_S8_l,comdat
.Lfunc_end22:
	.size	_ZN9rocsolver6v33100L16mfma_gemm_kernelI19rocblas_complex_numIdEiS3_PKPS3_S4_S4_EEv18rocblas_operation_S7_T0_S8_S8_T1_T2_lS8_S8_lT3_lS8_S8_lS9_T4_lS8_S8_l, .Lfunc_end22-_ZN9rocsolver6v33100L16mfma_gemm_kernelI19rocblas_complex_numIdEiS3_PKPS3_S4_S4_EEv18rocblas_operation_S7_T0_S8_S8_T1_T2_lS8_S8_lT3_lS8_S8_lS9_T4_lS8_S8_l
                                        ; -- End function
	.set _ZN9rocsolver6v33100L16mfma_gemm_kernelI19rocblas_complex_numIdEiS3_PKPS3_S4_S4_EEv18rocblas_operation_S7_T0_S8_S8_T1_T2_lS8_S8_lT3_lS8_S8_lS9_T4_lS8_S8_l.num_vgpr, 0
	.set _ZN9rocsolver6v33100L16mfma_gemm_kernelI19rocblas_complex_numIdEiS3_PKPS3_S4_S4_EEv18rocblas_operation_S7_T0_S8_S8_T1_T2_lS8_S8_lT3_lS8_S8_lS9_T4_lS8_S8_l.num_agpr, 0
	.set _ZN9rocsolver6v33100L16mfma_gemm_kernelI19rocblas_complex_numIdEiS3_PKPS3_S4_S4_EEv18rocblas_operation_S7_T0_S8_S8_T1_T2_lS8_S8_lT3_lS8_S8_lS9_T4_lS8_S8_l.numbered_sgpr, 0
	.set _ZN9rocsolver6v33100L16mfma_gemm_kernelI19rocblas_complex_numIdEiS3_PKPS3_S4_S4_EEv18rocblas_operation_S7_T0_S8_S8_T1_T2_lS8_S8_lT3_lS8_S8_lS9_T4_lS8_S8_l.num_named_barrier, 0
	.set _ZN9rocsolver6v33100L16mfma_gemm_kernelI19rocblas_complex_numIdEiS3_PKPS3_S4_S4_EEv18rocblas_operation_S7_T0_S8_S8_T1_T2_lS8_S8_lT3_lS8_S8_lS9_T4_lS8_S8_l.private_seg_size, 0
	.set _ZN9rocsolver6v33100L16mfma_gemm_kernelI19rocblas_complex_numIdEiS3_PKPS3_S4_S4_EEv18rocblas_operation_S7_T0_S8_S8_T1_T2_lS8_S8_lT3_lS8_S8_lS9_T4_lS8_S8_l.uses_vcc, 0
	.set _ZN9rocsolver6v33100L16mfma_gemm_kernelI19rocblas_complex_numIdEiS3_PKPS3_S4_S4_EEv18rocblas_operation_S7_T0_S8_S8_T1_T2_lS8_S8_lT3_lS8_S8_lS9_T4_lS8_S8_l.uses_flat_scratch, 0
	.set _ZN9rocsolver6v33100L16mfma_gemm_kernelI19rocblas_complex_numIdEiS3_PKPS3_S4_S4_EEv18rocblas_operation_S7_T0_S8_S8_T1_T2_lS8_S8_lT3_lS8_S8_lS9_T4_lS8_S8_l.has_dyn_sized_stack, 0
	.set _ZN9rocsolver6v33100L16mfma_gemm_kernelI19rocblas_complex_numIdEiS3_PKPS3_S4_S4_EEv18rocblas_operation_S7_T0_S8_S8_T1_T2_lS8_S8_lT3_lS8_S8_lS9_T4_lS8_S8_l.has_recursion, 0
	.set _ZN9rocsolver6v33100L16mfma_gemm_kernelI19rocblas_complex_numIdEiS3_PKPS3_S4_S4_EEv18rocblas_operation_S7_T0_S8_S8_T1_T2_lS8_S8_lT3_lS8_S8_lS9_T4_lS8_S8_l.has_indirect_call, 0
	.section	.AMDGPU.csdata,"",@progbits
; Kernel info:
; codeLenInByte = 4
; TotalNumSgprs: 4
; NumVgprs: 0
; ScratchSize: 0
; MemoryBound: 0
; FloatMode: 240
; IeeeMode: 1
; LDSByteSize: 0 bytes/workgroup (compile time only)
; SGPRBlocks: 0
; VGPRBlocks: 0
; NumSGPRsForWavesPerEU: 4
; NumVGPRsForWavesPerEU: 1
; Occupancy: 10
; WaveLimiterHint : 0
; COMPUTE_PGM_RSRC2:SCRATCH_EN: 0
; COMPUTE_PGM_RSRC2:USER_SGPR: 6
; COMPUTE_PGM_RSRC2:TRAP_HANDLER: 0
; COMPUTE_PGM_RSRC2:TGID_X_EN: 1
; COMPUTE_PGM_RSRC2:TGID_Y_EN: 0
; COMPUTE_PGM_RSRC2:TGID_Z_EN: 0
; COMPUTE_PGM_RSRC2:TIDIG_COMP_CNT: 0
	.section	.text._ZN9rocsolver6v33100L11gemm_kernelI19rocblas_complex_numIdEiPKS3_PKPS3_S6_S6_EEvT0_S9_S9_T1_bT2_lS9_S9_lbT3_lS9_S9_lSA_T4_lS9_S9_l,"axG",@progbits,_ZN9rocsolver6v33100L11gemm_kernelI19rocblas_complex_numIdEiPKS3_PKPS3_S6_S6_EEvT0_S9_S9_T1_bT2_lS9_S9_lbT3_lS9_S9_lSA_T4_lS9_S9_l,comdat
	.globl	_ZN9rocsolver6v33100L11gemm_kernelI19rocblas_complex_numIdEiPKS3_PKPS3_S6_S6_EEvT0_S9_S9_T1_bT2_lS9_S9_lbT3_lS9_S9_lSA_T4_lS9_S9_l ; -- Begin function _ZN9rocsolver6v33100L11gemm_kernelI19rocblas_complex_numIdEiPKS3_PKPS3_S6_S6_EEvT0_S9_S9_T1_bT2_lS9_S9_lbT3_lS9_S9_lSA_T4_lS9_S9_l
	.p2align	8
	.type	_ZN9rocsolver6v33100L11gemm_kernelI19rocblas_complex_numIdEiPKS3_PKPS3_S6_S6_EEvT0_S9_S9_T1_bT2_lS9_S9_lbT3_lS9_S9_lSA_T4_lS9_S9_l,@function
_ZN9rocsolver6v33100L11gemm_kernelI19rocblas_complex_numIdEiPKS3_PKPS3_S6_S6_EEvT0_S9_S9_T1_bT2_lS9_S9_lbT3_lS9_S9_lSA_T4_lS9_S9_l: ; @_ZN9rocsolver6v33100L11gemm_kernelI19rocblas_complex_numIdEiPKS3_PKPS3_S6_S6_EEvT0_S9_S9_T1_bT2_lS9_S9_lbT3_lS9_S9_lSA_T4_lS9_S9_l
; %bb.0:
	s_load_dword s0, s[4:5], 0x9c
	s_load_dwordx4 s[20:23], s[4:5], 0x0
	s_waitcnt lgkmcnt(0)
	s_lshr_b32 s1, s0, 16
	s_and_b32 s0, s0, 0xffff
	s_mul_i32 s6, s6, s0
	s_mul_i32 s7, s7, s1
	v_add_u32_e32 v9, s6, v0
	v_add_u32_e32 v8, s7, v1
	v_cmp_gt_i32_e32 vcc, s20, v9
	v_cmp_gt_i32_e64 s[0:1], s21, v8
	s_and_b64 s[0:1], vcc, s[0:1]
	s_and_saveexec_b64 s[2:3], s[0:1]
	s_cbranch_execz .LBB23_6
; %bb.1:
	s_load_dwordx2 s[6:7], s[4:5], 0x10
	s_load_dwordx8 s[12:19], s[4:5], 0x60
	s_ashr_i32 s9, s8, 31
	s_cmp_lt_i32 s22, 1
	s_cbranch_scc1 .LBB23_4
; %bb.2:
	s_load_dwordx4 s[0:3], s[4:5], 0x20
	s_load_dword s23, s[4:5], 0x18
	s_load_dwordx2 s[10:11], s[4:5], 0x30
	s_load_dword s30, s[4:5], 0x40
	s_lshl_b64 s[20:21], s[8:9], 3
	s_waitcnt lgkmcnt(0)
	s_add_u32 s0, s0, s20
	s_addc_u32 s1, s1, s21
	s_load_dwordx2 s[20:21], s[0:1], 0x0
	v_mul_lo_u32 v0, v9, s10
	s_bitcmp1_b32 s23, 0
	s_cselect_b64 vcc, -1, 0
	s_bitcmp1_b32 s30, 0
	s_cselect_b64 s[0:1], -1, 0
	s_lshl_b64 s[2:3], s[2:3], 4
	v_ashrrev_i32_e32 v1, 31, v0
	v_lshlrev_b64 v[0:1], 4, v[0:1]
	s_waitcnt lgkmcnt(0)
	s_add_u32 s2, s20, s2
	s_load_dwordx4 s[24:27], s[4:5], 0x48
	s_load_dwordx2 s[28:29], s[4:5], 0x58
	s_addc_u32 s3, s21, s3
	v_mov_b32_e32 v3, s3
	v_add_co_u32_e64 v4, s[2:3], s2, v0
	v_addc_co_u32_e64 v5, s[2:3], v3, v1, s[2:3]
	s_ashr_i32 s3, s11, 31
	s_mov_b32 s2, s11
	s_lshl_b64 s[10:11], s[2:3], 4
	s_mul_i32 s2, s12, s9
	s_mul_hi_u32 s3, s12, s8
	s_waitcnt lgkmcnt(0)
	v_mul_lo_u32 v2, v8, s29
	s_add_i32 s2, s3, s2
	s_mul_i32 s3, s13, s8
	s_add_i32 s3, s2, s3
	s_mul_i32 s2, s12, s8
	s_lshl_b64 s[2:3], s[2:3], 4
	s_lshl_b64 s[12:13], s[26:27], 4
	s_add_u32 s2, s2, s12
	s_addc_u32 s3, s3, s13
	v_ashrrev_i32_e32 v3, 31, v2
	v_lshlrev_b64 v[0:1], 4, v[2:3]
	s_add_u32 s2, s24, s2
	s_addc_u32 s3, s25, s3
	v_mov_b32_e32 v2, s3
	v_add_co_u32_e64 v0, s[2:3], s2, v0
	v_addc_co_u32_e64 v1, s[2:3], v2, v1, s[2:3]
	v_add_co_u32_e64 v6, s[2:3], 8, v0
	s_ashr_i32 s29, s28, 31
	v_addc_co_u32_e64 v7, s[2:3], 0, v1, s[2:3]
	s_lshl_b64 s[12:13], s[28:29], 4
	v_mov_b32_e32 v0, 0
	v_mov_b32_e32 v2, 0
	;; [unrolled: 1-line block ×6, first 2 shown]
.LBB23_3:                               ; =>This Inner Loop Header: Depth=1
	flat_load_dwordx4 v[12:15], v[4:5]
	global_load_dwordx4 v[16:19], v[6:7], off offset:-8
	v_add_co_u32_e64 v4, s[2:3], s10, v4
	v_addc_co_u32_e64 v5, s[2:3], v5, v10, s[2:3]
	s_add_i32 s22, s22, -1
	v_add_co_u32_e64 v6, s[2:3], s12, v6
	s_cmp_eq_u32 s22, 0
	v_addc_co_u32_e64 v7, s[2:3], v7, v11, s[2:3]
	s_waitcnt vmcnt(0) lgkmcnt(0)
	v_xor_b32_e32 v20, 0x80000000, v15
	v_xor_b32_e32 v21, 0x80000000, v19
	v_cndmask_b32_e32 v15, v15, v20, vcc
	v_cndmask_b32_e64 v19, v19, v21, s[0:1]
	v_mul_f64 v[20:21], v[14:15], v[18:19]
	v_mul_f64 v[14:15], v[14:15], v[16:17]
	v_fma_f64 v[20:21], v[12:13], v[16:17], -v[20:21]
	v_fma_f64 v[12:13], v[12:13], v[18:19], v[14:15]
	v_add_f64 v[2:3], v[2:3], v[20:21]
	v_add_f64 v[0:1], v[0:1], v[12:13]
	s_cbranch_scc0 .LBB23_3
	s_branch .LBB23_5
.LBB23_4:
	v_mov_b32_e32 v0, 0
	v_mov_b32_e32 v2, 0
	;; [unrolled: 1-line block ×4, first 2 shown]
.LBB23_5:
	s_waitcnt lgkmcnt(0)
	s_load_dwordx4 s[20:23], s[6:7], 0x0
	s_load_dwordx4 s[0:3], s[14:15], 0x0
                                        ; kill: killed $sgpr14_sgpr15
                                        ; kill: killed $sgpr6_sgpr7
	s_nop 0
	s_load_dwordx4 s[4:7], s[4:5], 0x80
	s_waitcnt lgkmcnt(0)
	v_mul_f64 v[10:11], s[22:23], v[0:1]
	v_mul_f64 v[0:1], s[20:21], v[0:1]
	v_mul_lo_u32 v4, v9, s4
	s_mul_i32 s9, s6, s9
	s_mul_hi_u32 s10, s6, s8
	s_mul_i32 s7, s7, s8
	s_add_i32 s4, s10, s9
	s_add_i32 s7, s4, s7
	v_mad_u64_u32 v[4:5], s[4:5], v8, s5, v[4:5]
	s_mul_i32 s6, s6, s8
	s_lshl_b64 s[6:7], s[6:7], 4
	s_add_u32 s6, s16, s6
	s_addc_u32 s7, s17, s7
	s_lshl_b64 s[4:5], s[18:19], 4
	v_ashrrev_i32_e32 v5, 31, v4
	s_add_u32 s4, s6, s4
	v_lshlrev_b64 v[4:5], 4, v[4:5]
	s_addc_u32 s5, s7, s5
	v_mov_b32_e32 v6, s5
	v_add_co_u32_e32 v8, vcc, s4, v4
	v_addc_co_u32_e32 v9, vcc, v6, v5, vcc
	global_load_dwordx4 v[4:7], v[8:9], off
	v_fma_f64 v[10:11], s[20:21], v[2:3], -v[10:11]
	v_fma_f64 v[2:3], s[22:23], v[2:3], v[0:1]
	s_waitcnt vmcnt(0)
	v_mul_f64 v[12:13], s[2:3], v[6:7]
	v_mul_f64 v[6:7], s[0:1], v[6:7]
	v_fma_f64 v[0:1], s[0:1], v[4:5], -v[12:13]
	v_fma_f64 v[4:5], s[2:3], v[4:5], v[6:7]
	v_add_f64 v[0:1], v[10:11], v[0:1]
	v_add_f64 v[2:3], v[2:3], v[4:5]
	global_store_dwordx4 v[8:9], v[0:3], off
.LBB23_6:
	s_endpgm
	.section	.rodata,"a",@progbits
	.p2align	6, 0x0
	.amdhsa_kernel _ZN9rocsolver6v33100L11gemm_kernelI19rocblas_complex_numIdEiPKS3_PKPS3_S6_S6_EEvT0_S9_S9_T1_bT2_lS9_S9_lbT3_lS9_S9_lSA_T4_lS9_S9_l
		.amdhsa_group_segment_fixed_size 0
		.amdhsa_private_segment_fixed_size 0
		.amdhsa_kernarg_size 400
		.amdhsa_user_sgpr_count 6
		.amdhsa_user_sgpr_private_segment_buffer 1
		.amdhsa_user_sgpr_dispatch_ptr 0
		.amdhsa_user_sgpr_queue_ptr 0
		.amdhsa_user_sgpr_kernarg_segment_ptr 1
		.amdhsa_user_sgpr_dispatch_id 0
		.amdhsa_user_sgpr_flat_scratch_init 0
		.amdhsa_user_sgpr_private_segment_size 0
		.amdhsa_uses_dynamic_stack 0
		.amdhsa_system_sgpr_private_segment_wavefront_offset 0
		.amdhsa_system_sgpr_workgroup_id_x 1
		.amdhsa_system_sgpr_workgroup_id_y 1
		.amdhsa_system_sgpr_workgroup_id_z 1
		.amdhsa_system_sgpr_workgroup_info 0
		.amdhsa_system_vgpr_workitem_id 1
		.amdhsa_next_free_vgpr 22
		.amdhsa_next_free_sgpr 31
		.amdhsa_reserve_vcc 1
		.amdhsa_reserve_flat_scratch 0
		.amdhsa_float_round_mode_32 0
		.amdhsa_float_round_mode_16_64 0
		.amdhsa_float_denorm_mode_32 3
		.amdhsa_float_denorm_mode_16_64 3
		.amdhsa_dx10_clamp 1
		.amdhsa_ieee_mode 1
		.amdhsa_fp16_overflow 0
		.amdhsa_exception_fp_ieee_invalid_op 0
		.amdhsa_exception_fp_denorm_src 0
		.amdhsa_exception_fp_ieee_div_zero 0
		.amdhsa_exception_fp_ieee_overflow 0
		.amdhsa_exception_fp_ieee_underflow 0
		.amdhsa_exception_fp_ieee_inexact 0
		.amdhsa_exception_int_div_zero 0
	.end_amdhsa_kernel
	.section	.text._ZN9rocsolver6v33100L11gemm_kernelI19rocblas_complex_numIdEiPKS3_PKPS3_S6_S6_EEvT0_S9_S9_T1_bT2_lS9_S9_lbT3_lS9_S9_lSA_T4_lS9_S9_l,"axG",@progbits,_ZN9rocsolver6v33100L11gemm_kernelI19rocblas_complex_numIdEiPKS3_PKPS3_S6_S6_EEvT0_S9_S9_T1_bT2_lS9_S9_lbT3_lS9_S9_lSA_T4_lS9_S9_l,comdat
.Lfunc_end23:
	.size	_ZN9rocsolver6v33100L11gemm_kernelI19rocblas_complex_numIdEiPKS3_PKPS3_S6_S6_EEvT0_S9_S9_T1_bT2_lS9_S9_lbT3_lS9_S9_lSA_T4_lS9_S9_l, .Lfunc_end23-_ZN9rocsolver6v33100L11gemm_kernelI19rocblas_complex_numIdEiPKS3_PKPS3_S6_S6_EEvT0_S9_S9_T1_bT2_lS9_S9_lbT3_lS9_S9_lSA_T4_lS9_S9_l
                                        ; -- End function
	.set _ZN9rocsolver6v33100L11gemm_kernelI19rocblas_complex_numIdEiPKS3_PKPS3_S6_S6_EEvT0_S9_S9_T1_bT2_lS9_S9_lbT3_lS9_S9_lSA_T4_lS9_S9_l.num_vgpr, 22
	.set _ZN9rocsolver6v33100L11gemm_kernelI19rocblas_complex_numIdEiPKS3_PKPS3_S6_S6_EEvT0_S9_S9_T1_bT2_lS9_S9_lbT3_lS9_S9_lSA_T4_lS9_S9_l.num_agpr, 0
	.set _ZN9rocsolver6v33100L11gemm_kernelI19rocblas_complex_numIdEiPKS3_PKPS3_S6_S6_EEvT0_S9_S9_T1_bT2_lS9_S9_lbT3_lS9_S9_lSA_T4_lS9_S9_l.numbered_sgpr, 31
	.set _ZN9rocsolver6v33100L11gemm_kernelI19rocblas_complex_numIdEiPKS3_PKPS3_S6_S6_EEvT0_S9_S9_T1_bT2_lS9_S9_lbT3_lS9_S9_lSA_T4_lS9_S9_l.num_named_barrier, 0
	.set _ZN9rocsolver6v33100L11gemm_kernelI19rocblas_complex_numIdEiPKS3_PKPS3_S6_S6_EEvT0_S9_S9_T1_bT2_lS9_S9_lbT3_lS9_S9_lSA_T4_lS9_S9_l.private_seg_size, 0
	.set _ZN9rocsolver6v33100L11gemm_kernelI19rocblas_complex_numIdEiPKS3_PKPS3_S6_S6_EEvT0_S9_S9_T1_bT2_lS9_S9_lbT3_lS9_S9_lSA_T4_lS9_S9_l.uses_vcc, 1
	.set _ZN9rocsolver6v33100L11gemm_kernelI19rocblas_complex_numIdEiPKS3_PKPS3_S6_S6_EEvT0_S9_S9_T1_bT2_lS9_S9_lbT3_lS9_S9_lSA_T4_lS9_S9_l.uses_flat_scratch, 0
	.set _ZN9rocsolver6v33100L11gemm_kernelI19rocblas_complex_numIdEiPKS3_PKPS3_S6_S6_EEvT0_S9_S9_T1_bT2_lS9_S9_lbT3_lS9_S9_lSA_T4_lS9_S9_l.has_dyn_sized_stack, 0
	.set _ZN9rocsolver6v33100L11gemm_kernelI19rocblas_complex_numIdEiPKS3_PKPS3_S6_S6_EEvT0_S9_S9_T1_bT2_lS9_S9_lbT3_lS9_S9_lSA_T4_lS9_S9_l.has_recursion, 0
	.set _ZN9rocsolver6v33100L11gemm_kernelI19rocblas_complex_numIdEiPKS3_PKPS3_S6_S6_EEvT0_S9_S9_T1_bT2_lS9_S9_lbT3_lS9_S9_lSA_T4_lS9_S9_l.has_indirect_call, 0
	.section	.AMDGPU.csdata,"",@progbits
; Kernel info:
; codeLenInByte = 784
; TotalNumSgprs: 35
; NumVgprs: 22
; ScratchSize: 0
; MemoryBound: 0
; FloatMode: 240
; IeeeMode: 1
; LDSByteSize: 0 bytes/workgroup (compile time only)
; SGPRBlocks: 4
; VGPRBlocks: 5
; NumSGPRsForWavesPerEU: 35
; NumVGPRsForWavesPerEU: 22
; Occupancy: 10
; WaveLimiterHint : 1
; COMPUTE_PGM_RSRC2:SCRATCH_EN: 0
; COMPUTE_PGM_RSRC2:USER_SGPR: 6
; COMPUTE_PGM_RSRC2:TRAP_HANDLER: 0
; COMPUTE_PGM_RSRC2:TGID_X_EN: 1
; COMPUTE_PGM_RSRC2:TGID_Y_EN: 1
; COMPUTE_PGM_RSRC2:TGID_Z_EN: 1
; COMPUTE_PGM_RSRC2:TIDIG_COMP_CNT: 1
	.section	.text._ZN9rocsolver6v33100L11gemm_kernelI19rocblas_complex_numIdEiS3_PKPS3_S4_S4_EEvT0_S7_S7_T1_bT2_lS7_S7_lbT3_lS7_S7_lS8_T4_lS7_S7_l,"axG",@progbits,_ZN9rocsolver6v33100L11gemm_kernelI19rocblas_complex_numIdEiS3_PKPS3_S4_S4_EEvT0_S7_S7_T1_bT2_lS7_S7_lbT3_lS7_S7_lS8_T4_lS7_S7_l,comdat
	.globl	_ZN9rocsolver6v33100L11gemm_kernelI19rocblas_complex_numIdEiS3_PKPS3_S4_S4_EEvT0_S7_S7_T1_bT2_lS7_S7_lbT3_lS7_S7_lS8_T4_lS7_S7_l ; -- Begin function _ZN9rocsolver6v33100L11gemm_kernelI19rocblas_complex_numIdEiS3_PKPS3_S4_S4_EEvT0_S7_S7_T1_bT2_lS7_S7_lbT3_lS7_S7_lS8_T4_lS7_S7_l
	.p2align	8
	.type	_ZN9rocsolver6v33100L11gemm_kernelI19rocblas_complex_numIdEiS3_PKPS3_S4_S4_EEvT0_S7_S7_T1_bT2_lS7_S7_lbT3_lS7_S7_lS8_T4_lS7_S7_l,@function
_ZN9rocsolver6v33100L11gemm_kernelI19rocblas_complex_numIdEiS3_PKPS3_S4_S4_EEvT0_S7_S7_T1_bT2_lS7_S7_lbT3_lS7_S7_lS8_T4_lS7_S7_l: ; @_ZN9rocsolver6v33100L11gemm_kernelI19rocblas_complex_numIdEiS3_PKPS3_S4_S4_EEvT0_S7_S7_T1_bT2_lS7_S7_lbT3_lS7_S7_lS8_T4_lS7_S7_l
; %bb.0:
	s_load_dword s0, s[4:5], 0xac
	s_load_dwordx4 s[20:23], s[4:5], 0x0
	s_waitcnt lgkmcnt(0)
	s_lshr_b32 s1, s0, 16
	s_and_b32 s0, s0, 0xffff
	s_mul_i32 s6, s6, s0
	s_mul_i32 s7, s7, s1
	v_add_u32_e32 v9, s6, v0
	v_add_u32_e32 v8, s7, v1
	v_cmp_gt_i32_e32 vcc, s20, v9
	v_cmp_gt_i32_e64 s[0:1], s21, v8
	s_and_b64 s[0:1], vcc, s[0:1]
	s_and_saveexec_b64 s[2:3], s[0:1]
	s_cbranch_execz .LBB24_6
; %bb.1:
	s_load_dwordx2 s[6:7], s[4:5], 0x88
	s_load_dwordx8 s[12:19], s[4:5], 0x68
	s_ashr_i32 s9, s8, 31
	s_cmp_lt_i32 s22, 1
	s_cbranch_scc1 .LBB24_4
; %bb.2:
	s_load_dwordx4 s[0:3], s[4:5], 0x28
	s_load_dword s23, s[4:5], 0x20
	s_load_dwordx2 s[10:11], s[4:5], 0x38
	s_load_dword s30, s[4:5], 0x48
	s_lshl_b64 s[20:21], s[8:9], 3
	s_waitcnt lgkmcnt(0)
	s_add_u32 s0, s0, s20
	s_addc_u32 s1, s1, s21
	s_load_dwordx2 s[20:21], s[0:1], 0x0
	v_mul_lo_u32 v0, v9, s10
	s_bitcmp1_b32 s23, 0
	s_cselect_b64 vcc, -1, 0
	s_bitcmp1_b32 s30, 0
	s_cselect_b64 s[0:1], -1, 0
	s_lshl_b64 s[2:3], s[2:3], 4
	v_ashrrev_i32_e32 v1, 31, v0
	v_lshlrev_b64 v[0:1], 4, v[0:1]
	s_waitcnt lgkmcnt(0)
	s_add_u32 s2, s20, s2
	s_load_dwordx4 s[24:27], s[4:5], 0x50
	s_load_dwordx2 s[28:29], s[4:5], 0x60
	s_addc_u32 s3, s21, s3
	v_mov_b32_e32 v3, s3
	v_add_co_u32_e64 v4, s[2:3], s2, v0
	v_addc_co_u32_e64 v5, s[2:3], v3, v1, s[2:3]
	s_ashr_i32 s3, s11, 31
	s_mov_b32 s2, s11
	s_lshl_b64 s[10:11], s[2:3], 4
	s_mul_i32 s2, s12, s9
	s_mul_hi_u32 s3, s12, s8
	s_waitcnt lgkmcnt(0)
	v_mul_lo_u32 v2, v8, s29
	s_add_i32 s2, s3, s2
	s_mul_i32 s3, s13, s8
	s_add_i32 s3, s2, s3
	s_mul_i32 s2, s12, s8
	s_lshl_b64 s[2:3], s[2:3], 4
	s_lshl_b64 s[12:13], s[26:27], 4
	s_add_u32 s2, s2, s12
	s_addc_u32 s3, s3, s13
	v_ashrrev_i32_e32 v3, 31, v2
	v_lshlrev_b64 v[0:1], 4, v[2:3]
	s_add_u32 s2, s24, s2
	s_addc_u32 s3, s25, s3
	v_mov_b32_e32 v2, s3
	v_add_co_u32_e64 v0, s[2:3], s2, v0
	v_addc_co_u32_e64 v1, s[2:3], v2, v1, s[2:3]
	v_add_co_u32_e64 v6, s[2:3], 8, v0
	s_ashr_i32 s29, s28, 31
	v_addc_co_u32_e64 v7, s[2:3], 0, v1, s[2:3]
	s_lshl_b64 s[12:13], s[28:29], 4
	v_mov_b32_e32 v0, 0
	v_mov_b32_e32 v2, 0
	;; [unrolled: 1-line block ×6, first 2 shown]
.LBB24_3:                               ; =>This Inner Loop Header: Depth=1
	flat_load_dwordx4 v[12:15], v[4:5]
	global_load_dwordx4 v[16:19], v[6:7], off offset:-8
	v_add_co_u32_e64 v4, s[2:3], s10, v4
	v_addc_co_u32_e64 v5, s[2:3], v5, v10, s[2:3]
	s_add_i32 s22, s22, -1
	v_add_co_u32_e64 v6, s[2:3], s12, v6
	s_cmp_eq_u32 s22, 0
	v_addc_co_u32_e64 v7, s[2:3], v7, v11, s[2:3]
	s_waitcnt vmcnt(0) lgkmcnt(0)
	v_xor_b32_e32 v20, 0x80000000, v15
	v_xor_b32_e32 v21, 0x80000000, v19
	v_cndmask_b32_e32 v15, v15, v20, vcc
	v_cndmask_b32_e64 v19, v19, v21, s[0:1]
	v_mul_f64 v[20:21], v[14:15], v[18:19]
	v_mul_f64 v[14:15], v[14:15], v[16:17]
	v_fma_f64 v[20:21], v[12:13], v[16:17], -v[20:21]
	v_fma_f64 v[12:13], v[12:13], v[18:19], v[14:15]
	v_add_f64 v[2:3], v[2:3], v[20:21]
	v_add_f64 v[0:1], v[0:1], v[12:13]
	s_cbranch_scc0 .LBB24_3
	s_branch .LBB24_5
.LBB24_4:
	v_mov_b32_e32 v0, 0
	v_mov_b32_e32 v2, 0
	;; [unrolled: 1-line block ×4, first 2 shown]
.LBB24_5:
	s_load_dwordx4 s[0:3], s[4:5], 0x10
	s_load_dwordx4 s[20:23], s[4:5], 0x90
	s_waitcnt lgkmcnt(0)
	v_mul_f64 v[10:11], s[2:3], v[0:1]
	s_mul_i32 s5, s22, s9
	s_mul_hi_u32 s9, s22, s8
	s_mul_i32 s10, s23, s8
	v_mul_lo_u32 v4, v9, s20
	s_add_i32 s5, s9, s5
	s_mul_i32 s4, s22, s8
	s_add_i32 s5, s5, s10
	s_lshl_b64 s[4:5], s[4:5], 4
	s_add_u32 s8, s18, s4
	s_addc_u32 s9, s19, s5
	v_mad_u64_u32 v[4:5], s[4:5], v8, s21, v[4:5]
	s_lshl_b64 s[4:5], s[6:7], 4
	s_add_u32 s4, s8, s4
	v_ashrrev_i32_e32 v5, 31, v4
	v_lshlrev_b64 v[4:5], 4, v[4:5]
	s_addc_u32 s5, s9, s5
	v_mov_b32_e32 v6, s5
	v_add_co_u32_e32 v8, vcc, s4, v4
	v_addc_co_u32_e32 v9, vcc, v6, v5, vcc
	global_load_dwordx4 v[4:7], v[8:9], off
	v_mul_f64 v[0:1], s[0:1], v[0:1]
	v_fma_f64 v[10:11], s[0:1], v[2:3], -v[10:11]
	v_fma_f64 v[2:3], s[2:3], v[2:3], v[0:1]
	s_waitcnt vmcnt(0)
	v_mul_f64 v[12:13], s[16:17], v[6:7]
	v_mul_f64 v[6:7], s[14:15], v[6:7]
	v_fma_f64 v[0:1], s[14:15], v[4:5], -v[12:13]
	v_fma_f64 v[4:5], s[16:17], v[4:5], v[6:7]
	v_add_f64 v[0:1], v[10:11], v[0:1]
	v_add_f64 v[2:3], v[2:3], v[4:5]
	global_store_dwordx4 v[8:9], v[0:3], off
.LBB24_6:
	s_endpgm
	.section	.rodata,"a",@progbits
	.p2align	6, 0x0
	.amdhsa_kernel _ZN9rocsolver6v33100L11gemm_kernelI19rocblas_complex_numIdEiS3_PKPS3_S4_S4_EEvT0_S7_S7_T1_bT2_lS7_S7_lbT3_lS7_S7_lS8_T4_lS7_S7_l
		.amdhsa_group_segment_fixed_size 0
		.amdhsa_private_segment_fixed_size 0
		.amdhsa_kernarg_size 416
		.amdhsa_user_sgpr_count 6
		.amdhsa_user_sgpr_private_segment_buffer 1
		.amdhsa_user_sgpr_dispatch_ptr 0
		.amdhsa_user_sgpr_queue_ptr 0
		.amdhsa_user_sgpr_kernarg_segment_ptr 1
		.amdhsa_user_sgpr_dispatch_id 0
		.amdhsa_user_sgpr_flat_scratch_init 0
		.amdhsa_user_sgpr_private_segment_size 0
		.amdhsa_uses_dynamic_stack 0
		.amdhsa_system_sgpr_private_segment_wavefront_offset 0
		.amdhsa_system_sgpr_workgroup_id_x 1
		.amdhsa_system_sgpr_workgroup_id_y 1
		.amdhsa_system_sgpr_workgroup_id_z 1
		.amdhsa_system_sgpr_workgroup_info 0
		.amdhsa_system_vgpr_workitem_id 1
		.amdhsa_next_free_vgpr 22
		.amdhsa_next_free_sgpr 31
		.amdhsa_reserve_vcc 1
		.amdhsa_reserve_flat_scratch 0
		.amdhsa_float_round_mode_32 0
		.amdhsa_float_round_mode_16_64 0
		.amdhsa_float_denorm_mode_32 3
		.amdhsa_float_denorm_mode_16_64 3
		.amdhsa_dx10_clamp 1
		.amdhsa_ieee_mode 1
		.amdhsa_fp16_overflow 0
		.amdhsa_exception_fp_ieee_invalid_op 0
		.amdhsa_exception_fp_denorm_src 0
		.amdhsa_exception_fp_ieee_div_zero 0
		.amdhsa_exception_fp_ieee_overflow 0
		.amdhsa_exception_fp_ieee_underflow 0
		.amdhsa_exception_fp_ieee_inexact 0
		.amdhsa_exception_int_div_zero 0
	.end_amdhsa_kernel
	.section	.text._ZN9rocsolver6v33100L11gemm_kernelI19rocblas_complex_numIdEiS3_PKPS3_S4_S4_EEvT0_S7_S7_T1_bT2_lS7_S7_lbT3_lS7_S7_lS8_T4_lS7_S7_l,"axG",@progbits,_ZN9rocsolver6v33100L11gemm_kernelI19rocblas_complex_numIdEiS3_PKPS3_S4_S4_EEvT0_S7_S7_T1_bT2_lS7_S7_lbT3_lS7_S7_lS8_T4_lS7_S7_l,comdat
.Lfunc_end24:
	.size	_ZN9rocsolver6v33100L11gemm_kernelI19rocblas_complex_numIdEiS3_PKPS3_S4_S4_EEvT0_S7_S7_T1_bT2_lS7_S7_lbT3_lS7_S7_lS8_T4_lS7_S7_l, .Lfunc_end24-_ZN9rocsolver6v33100L11gemm_kernelI19rocblas_complex_numIdEiS3_PKPS3_S4_S4_EEvT0_S7_S7_T1_bT2_lS7_S7_lbT3_lS7_S7_lS8_T4_lS7_S7_l
                                        ; -- End function
	.set _ZN9rocsolver6v33100L11gemm_kernelI19rocblas_complex_numIdEiS3_PKPS3_S4_S4_EEvT0_S7_S7_T1_bT2_lS7_S7_lbT3_lS7_S7_lS8_T4_lS7_S7_l.num_vgpr, 22
	.set _ZN9rocsolver6v33100L11gemm_kernelI19rocblas_complex_numIdEiS3_PKPS3_S4_S4_EEvT0_S7_S7_T1_bT2_lS7_S7_lbT3_lS7_S7_lS8_T4_lS7_S7_l.num_agpr, 0
	.set _ZN9rocsolver6v33100L11gemm_kernelI19rocblas_complex_numIdEiS3_PKPS3_S4_S4_EEvT0_S7_S7_T1_bT2_lS7_S7_lbT3_lS7_S7_lS8_T4_lS7_S7_l.numbered_sgpr, 31
	.set _ZN9rocsolver6v33100L11gemm_kernelI19rocblas_complex_numIdEiS3_PKPS3_S4_S4_EEvT0_S7_S7_T1_bT2_lS7_S7_lbT3_lS7_S7_lS8_T4_lS7_S7_l.num_named_barrier, 0
	.set _ZN9rocsolver6v33100L11gemm_kernelI19rocblas_complex_numIdEiS3_PKPS3_S4_S4_EEvT0_S7_S7_T1_bT2_lS7_S7_lbT3_lS7_S7_lS8_T4_lS7_S7_l.private_seg_size, 0
	.set _ZN9rocsolver6v33100L11gemm_kernelI19rocblas_complex_numIdEiS3_PKPS3_S4_S4_EEvT0_S7_S7_T1_bT2_lS7_S7_lbT3_lS7_S7_lS8_T4_lS7_S7_l.uses_vcc, 1
	.set _ZN9rocsolver6v33100L11gemm_kernelI19rocblas_complex_numIdEiS3_PKPS3_S4_S4_EEvT0_S7_S7_T1_bT2_lS7_S7_lbT3_lS7_S7_lS8_T4_lS7_S7_l.uses_flat_scratch, 0
	.set _ZN9rocsolver6v33100L11gemm_kernelI19rocblas_complex_numIdEiS3_PKPS3_S4_S4_EEvT0_S7_S7_T1_bT2_lS7_S7_lbT3_lS7_S7_lS8_T4_lS7_S7_l.has_dyn_sized_stack, 0
	.set _ZN9rocsolver6v33100L11gemm_kernelI19rocblas_complex_numIdEiS3_PKPS3_S4_S4_EEvT0_S7_S7_T1_bT2_lS7_S7_lbT3_lS7_S7_lS8_T4_lS7_S7_l.has_recursion, 0
	.set _ZN9rocsolver6v33100L11gemm_kernelI19rocblas_complex_numIdEiS3_PKPS3_S4_S4_EEvT0_S7_S7_T1_bT2_lS7_S7_lbT3_lS7_S7_lS8_T4_lS7_S7_l.has_indirect_call, 0
	.section	.AMDGPU.csdata,"",@progbits
; Kernel info:
; codeLenInByte = 768
; TotalNumSgprs: 35
; NumVgprs: 22
; ScratchSize: 0
; MemoryBound: 0
; FloatMode: 240
; IeeeMode: 1
; LDSByteSize: 0 bytes/workgroup (compile time only)
; SGPRBlocks: 4
; VGPRBlocks: 5
; NumSGPRsForWavesPerEU: 35
; NumVGPRsForWavesPerEU: 22
; Occupancy: 10
; WaveLimiterHint : 1
; COMPUTE_PGM_RSRC2:SCRATCH_EN: 0
; COMPUTE_PGM_RSRC2:USER_SGPR: 6
; COMPUTE_PGM_RSRC2:TRAP_HANDLER: 0
; COMPUTE_PGM_RSRC2:TGID_X_EN: 1
; COMPUTE_PGM_RSRC2:TGID_Y_EN: 1
; COMPUTE_PGM_RSRC2:TGID_Z_EN: 1
; COMPUTE_PGM_RSRC2:TIDIG_COMP_CNT: 1
	.section	.text._ZN9rocsolver6v33100L16mfma_gemm_kernelI19rocblas_complex_numIdEiPKS3_PS3_PKS6_S6_EEv18rocblas_operation_S9_T0_SA_SA_T1_T2_lSA_SA_lT3_lSA_SA_lSB_T4_lSA_SA_l,"axG",@progbits,_ZN9rocsolver6v33100L16mfma_gemm_kernelI19rocblas_complex_numIdEiPKS3_PS3_PKS6_S6_EEv18rocblas_operation_S9_T0_SA_SA_T1_T2_lSA_SA_lT3_lSA_SA_lSB_T4_lSA_SA_l,comdat
	.globl	_ZN9rocsolver6v33100L16mfma_gemm_kernelI19rocblas_complex_numIdEiPKS3_PS3_PKS6_S6_EEv18rocblas_operation_S9_T0_SA_SA_T1_T2_lSA_SA_lT3_lSA_SA_lSB_T4_lSA_SA_l ; -- Begin function _ZN9rocsolver6v33100L16mfma_gemm_kernelI19rocblas_complex_numIdEiPKS3_PS3_PKS6_S6_EEv18rocblas_operation_S9_T0_SA_SA_T1_T2_lSA_SA_lT3_lSA_SA_lSB_T4_lSA_SA_l
	.p2align	8
	.type	_ZN9rocsolver6v33100L16mfma_gemm_kernelI19rocblas_complex_numIdEiPKS3_PS3_PKS6_S6_EEv18rocblas_operation_S9_T0_SA_SA_T1_T2_lSA_SA_lT3_lSA_SA_lSB_T4_lSA_SA_l,@function
_ZN9rocsolver6v33100L16mfma_gemm_kernelI19rocblas_complex_numIdEiPKS3_PS3_PKS6_S6_EEv18rocblas_operation_S9_T0_SA_SA_T1_T2_lSA_SA_lT3_lSA_SA_lSB_T4_lSA_SA_l: ; @_ZN9rocsolver6v33100L16mfma_gemm_kernelI19rocblas_complex_numIdEiPKS3_PS3_PKS6_S6_EEv18rocblas_operation_S9_T0_SA_SA_T1_T2_lSA_SA_lT3_lSA_SA_lSB_T4_lSA_SA_l
; %bb.0:
	s_endpgm
	.section	.rodata,"a",@progbits
	.p2align	6, 0x0
	.amdhsa_kernel _ZN9rocsolver6v33100L16mfma_gemm_kernelI19rocblas_complex_numIdEiPKS3_PS3_PKS6_S6_EEv18rocblas_operation_S9_T0_SA_SA_T1_T2_lSA_SA_lT3_lSA_SA_lSB_T4_lSA_SA_l
		.amdhsa_group_segment_fixed_size 0
		.amdhsa_private_segment_fixed_size 0
		.amdhsa_kernarg_size 136
		.amdhsa_user_sgpr_count 6
		.amdhsa_user_sgpr_private_segment_buffer 1
		.amdhsa_user_sgpr_dispatch_ptr 0
		.amdhsa_user_sgpr_queue_ptr 0
		.amdhsa_user_sgpr_kernarg_segment_ptr 1
		.amdhsa_user_sgpr_dispatch_id 0
		.amdhsa_user_sgpr_flat_scratch_init 0
		.amdhsa_user_sgpr_private_segment_size 0
		.amdhsa_uses_dynamic_stack 0
		.amdhsa_system_sgpr_private_segment_wavefront_offset 0
		.amdhsa_system_sgpr_workgroup_id_x 1
		.amdhsa_system_sgpr_workgroup_id_y 0
		.amdhsa_system_sgpr_workgroup_id_z 0
		.amdhsa_system_sgpr_workgroup_info 0
		.amdhsa_system_vgpr_workitem_id 0
		.amdhsa_next_free_vgpr 1
		.amdhsa_next_free_sgpr 0
		.amdhsa_reserve_vcc 0
		.amdhsa_reserve_flat_scratch 0
		.amdhsa_float_round_mode_32 0
		.amdhsa_float_round_mode_16_64 0
		.amdhsa_float_denorm_mode_32 3
		.amdhsa_float_denorm_mode_16_64 3
		.amdhsa_dx10_clamp 1
		.amdhsa_ieee_mode 1
		.amdhsa_fp16_overflow 0
		.amdhsa_exception_fp_ieee_invalid_op 0
		.amdhsa_exception_fp_denorm_src 0
		.amdhsa_exception_fp_ieee_div_zero 0
		.amdhsa_exception_fp_ieee_overflow 0
		.amdhsa_exception_fp_ieee_underflow 0
		.amdhsa_exception_fp_ieee_inexact 0
		.amdhsa_exception_int_div_zero 0
	.end_amdhsa_kernel
	.section	.text._ZN9rocsolver6v33100L16mfma_gemm_kernelI19rocblas_complex_numIdEiPKS3_PS3_PKS6_S6_EEv18rocblas_operation_S9_T0_SA_SA_T1_T2_lSA_SA_lT3_lSA_SA_lSB_T4_lSA_SA_l,"axG",@progbits,_ZN9rocsolver6v33100L16mfma_gemm_kernelI19rocblas_complex_numIdEiPKS3_PS3_PKS6_S6_EEv18rocblas_operation_S9_T0_SA_SA_T1_T2_lSA_SA_lT3_lSA_SA_lSB_T4_lSA_SA_l,comdat
.Lfunc_end25:
	.size	_ZN9rocsolver6v33100L16mfma_gemm_kernelI19rocblas_complex_numIdEiPKS3_PS3_PKS6_S6_EEv18rocblas_operation_S9_T0_SA_SA_T1_T2_lSA_SA_lT3_lSA_SA_lSB_T4_lSA_SA_l, .Lfunc_end25-_ZN9rocsolver6v33100L16mfma_gemm_kernelI19rocblas_complex_numIdEiPKS3_PS3_PKS6_S6_EEv18rocblas_operation_S9_T0_SA_SA_T1_T2_lSA_SA_lT3_lSA_SA_lSB_T4_lSA_SA_l
                                        ; -- End function
	.set _ZN9rocsolver6v33100L16mfma_gemm_kernelI19rocblas_complex_numIdEiPKS3_PS3_PKS6_S6_EEv18rocblas_operation_S9_T0_SA_SA_T1_T2_lSA_SA_lT3_lSA_SA_lSB_T4_lSA_SA_l.num_vgpr, 0
	.set _ZN9rocsolver6v33100L16mfma_gemm_kernelI19rocblas_complex_numIdEiPKS3_PS3_PKS6_S6_EEv18rocblas_operation_S9_T0_SA_SA_T1_T2_lSA_SA_lT3_lSA_SA_lSB_T4_lSA_SA_l.num_agpr, 0
	.set _ZN9rocsolver6v33100L16mfma_gemm_kernelI19rocblas_complex_numIdEiPKS3_PS3_PKS6_S6_EEv18rocblas_operation_S9_T0_SA_SA_T1_T2_lSA_SA_lT3_lSA_SA_lSB_T4_lSA_SA_l.numbered_sgpr, 0
	.set _ZN9rocsolver6v33100L16mfma_gemm_kernelI19rocblas_complex_numIdEiPKS3_PS3_PKS6_S6_EEv18rocblas_operation_S9_T0_SA_SA_T1_T2_lSA_SA_lT3_lSA_SA_lSB_T4_lSA_SA_l.num_named_barrier, 0
	.set _ZN9rocsolver6v33100L16mfma_gemm_kernelI19rocblas_complex_numIdEiPKS3_PS3_PKS6_S6_EEv18rocblas_operation_S9_T0_SA_SA_T1_T2_lSA_SA_lT3_lSA_SA_lSB_T4_lSA_SA_l.private_seg_size, 0
	.set _ZN9rocsolver6v33100L16mfma_gemm_kernelI19rocblas_complex_numIdEiPKS3_PS3_PKS6_S6_EEv18rocblas_operation_S9_T0_SA_SA_T1_T2_lSA_SA_lT3_lSA_SA_lSB_T4_lSA_SA_l.uses_vcc, 0
	.set _ZN9rocsolver6v33100L16mfma_gemm_kernelI19rocblas_complex_numIdEiPKS3_PS3_PKS6_S6_EEv18rocblas_operation_S9_T0_SA_SA_T1_T2_lSA_SA_lT3_lSA_SA_lSB_T4_lSA_SA_l.uses_flat_scratch, 0
	.set _ZN9rocsolver6v33100L16mfma_gemm_kernelI19rocblas_complex_numIdEiPKS3_PS3_PKS6_S6_EEv18rocblas_operation_S9_T0_SA_SA_T1_T2_lSA_SA_lT3_lSA_SA_lSB_T4_lSA_SA_l.has_dyn_sized_stack, 0
	.set _ZN9rocsolver6v33100L16mfma_gemm_kernelI19rocblas_complex_numIdEiPKS3_PS3_PKS6_S6_EEv18rocblas_operation_S9_T0_SA_SA_T1_T2_lSA_SA_lT3_lSA_SA_lSB_T4_lSA_SA_l.has_recursion, 0
	.set _ZN9rocsolver6v33100L16mfma_gemm_kernelI19rocblas_complex_numIdEiPKS3_PS3_PKS6_S6_EEv18rocblas_operation_S9_T0_SA_SA_T1_T2_lSA_SA_lT3_lSA_SA_lSB_T4_lSA_SA_l.has_indirect_call, 0
	.section	.AMDGPU.csdata,"",@progbits
; Kernel info:
; codeLenInByte = 4
; TotalNumSgprs: 4
; NumVgprs: 0
; ScratchSize: 0
; MemoryBound: 0
; FloatMode: 240
; IeeeMode: 1
; LDSByteSize: 0 bytes/workgroup (compile time only)
; SGPRBlocks: 0
; VGPRBlocks: 0
; NumSGPRsForWavesPerEU: 4
; NumVGPRsForWavesPerEU: 1
; Occupancy: 10
; WaveLimiterHint : 0
; COMPUTE_PGM_RSRC2:SCRATCH_EN: 0
; COMPUTE_PGM_RSRC2:USER_SGPR: 6
; COMPUTE_PGM_RSRC2:TRAP_HANDLER: 0
; COMPUTE_PGM_RSRC2:TGID_X_EN: 1
; COMPUTE_PGM_RSRC2:TGID_Y_EN: 0
; COMPUTE_PGM_RSRC2:TGID_Z_EN: 0
; COMPUTE_PGM_RSRC2:TIDIG_COMP_CNT: 0
	.section	.text._ZN9rocsolver6v33100L16mfma_gemm_kernelI19rocblas_complex_numIdEiS3_PS3_PKS4_S4_EEv18rocblas_operation_S7_T0_S8_S8_T1_T2_lS8_S8_lT3_lS8_S8_lS9_T4_lS8_S8_l,"axG",@progbits,_ZN9rocsolver6v33100L16mfma_gemm_kernelI19rocblas_complex_numIdEiS3_PS3_PKS4_S4_EEv18rocblas_operation_S7_T0_S8_S8_T1_T2_lS8_S8_lT3_lS8_S8_lS9_T4_lS8_S8_l,comdat
	.globl	_ZN9rocsolver6v33100L16mfma_gemm_kernelI19rocblas_complex_numIdEiS3_PS3_PKS4_S4_EEv18rocblas_operation_S7_T0_S8_S8_T1_T2_lS8_S8_lT3_lS8_S8_lS9_T4_lS8_S8_l ; -- Begin function _ZN9rocsolver6v33100L16mfma_gemm_kernelI19rocblas_complex_numIdEiS3_PS3_PKS4_S4_EEv18rocblas_operation_S7_T0_S8_S8_T1_T2_lS8_S8_lT3_lS8_S8_lS9_T4_lS8_S8_l
	.p2align	8
	.type	_ZN9rocsolver6v33100L16mfma_gemm_kernelI19rocblas_complex_numIdEiS3_PS3_PKS4_S4_EEv18rocblas_operation_S7_T0_S8_S8_T1_T2_lS8_S8_lT3_lS8_S8_lS9_T4_lS8_S8_l,@function
_ZN9rocsolver6v33100L16mfma_gemm_kernelI19rocblas_complex_numIdEiS3_PS3_PKS4_S4_EEv18rocblas_operation_S7_T0_S8_S8_T1_T2_lS8_S8_lT3_lS8_S8_lS9_T4_lS8_S8_l: ; @_ZN9rocsolver6v33100L16mfma_gemm_kernelI19rocblas_complex_numIdEiS3_PS3_PKS4_S4_EEv18rocblas_operation_S7_T0_S8_S8_T1_T2_lS8_S8_lT3_lS8_S8_lS9_T4_lS8_S8_l
; %bb.0:
	s_endpgm
	.section	.rodata,"a",@progbits
	.p2align	6, 0x0
	.amdhsa_kernel _ZN9rocsolver6v33100L16mfma_gemm_kernelI19rocblas_complex_numIdEiS3_PS3_PKS4_S4_EEv18rocblas_operation_S7_T0_S8_S8_T1_T2_lS8_S8_lT3_lS8_S8_lS9_T4_lS8_S8_l
		.amdhsa_group_segment_fixed_size 0
		.amdhsa_private_segment_fixed_size 0
		.amdhsa_kernarg_size 152
		.amdhsa_user_sgpr_count 6
		.amdhsa_user_sgpr_private_segment_buffer 1
		.amdhsa_user_sgpr_dispatch_ptr 0
		.amdhsa_user_sgpr_queue_ptr 0
		.amdhsa_user_sgpr_kernarg_segment_ptr 1
		.amdhsa_user_sgpr_dispatch_id 0
		.amdhsa_user_sgpr_flat_scratch_init 0
		.amdhsa_user_sgpr_private_segment_size 0
		.amdhsa_uses_dynamic_stack 0
		.amdhsa_system_sgpr_private_segment_wavefront_offset 0
		.amdhsa_system_sgpr_workgroup_id_x 1
		.amdhsa_system_sgpr_workgroup_id_y 0
		.amdhsa_system_sgpr_workgroup_id_z 0
		.amdhsa_system_sgpr_workgroup_info 0
		.amdhsa_system_vgpr_workitem_id 0
		.amdhsa_next_free_vgpr 1
		.amdhsa_next_free_sgpr 0
		.amdhsa_reserve_vcc 0
		.amdhsa_reserve_flat_scratch 0
		.amdhsa_float_round_mode_32 0
		.amdhsa_float_round_mode_16_64 0
		.amdhsa_float_denorm_mode_32 3
		.amdhsa_float_denorm_mode_16_64 3
		.amdhsa_dx10_clamp 1
		.amdhsa_ieee_mode 1
		.amdhsa_fp16_overflow 0
		.amdhsa_exception_fp_ieee_invalid_op 0
		.amdhsa_exception_fp_denorm_src 0
		.amdhsa_exception_fp_ieee_div_zero 0
		.amdhsa_exception_fp_ieee_overflow 0
		.amdhsa_exception_fp_ieee_underflow 0
		.amdhsa_exception_fp_ieee_inexact 0
		.amdhsa_exception_int_div_zero 0
	.end_amdhsa_kernel
	.section	.text._ZN9rocsolver6v33100L16mfma_gemm_kernelI19rocblas_complex_numIdEiS3_PS3_PKS4_S4_EEv18rocblas_operation_S7_T0_S8_S8_T1_T2_lS8_S8_lT3_lS8_S8_lS9_T4_lS8_S8_l,"axG",@progbits,_ZN9rocsolver6v33100L16mfma_gemm_kernelI19rocblas_complex_numIdEiS3_PS3_PKS4_S4_EEv18rocblas_operation_S7_T0_S8_S8_T1_T2_lS8_S8_lT3_lS8_S8_lS9_T4_lS8_S8_l,comdat
.Lfunc_end26:
	.size	_ZN9rocsolver6v33100L16mfma_gemm_kernelI19rocblas_complex_numIdEiS3_PS3_PKS4_S4_EEv18rocblas_operation_S7_T0_S8_S8_T1_T2_lS8_S8_lT3_lS8_S8_lS9_T4_lS8_S8_l, .Lfunc_end26-_ZN9rocsolver6v33100L16mfma_gemm_kernelI19rocblas_complex_numIdEiS3_PS3_PKS4_S4_EEv18rocblas_operation_S7_T0_S8_S8_T1_T2_lS8_S8_lT3_lS8_S8_lS9_T4_lS8_S8_l
                                        ; -- End function
	.set _ZN9rocsolver6v33100L16mfma_gemm_kernelI19rocblas_complex_numIdEiS3_PS3_PKS4_S4_EEv18rocblas_operation_S7_T0_S8_S8_T1_T2_lS8_S8_lT3_lS8_S8_lS9_T4_lS8_S8_l.num_vgpr, 0
	.set _ZN9rocsolver6v33100L16mfma_gemm_kernelI19rocblas_complex_numIdEiS3_PS3_PKS4_S4_EEv18rocblas_operation_S7_T0_S8_S8_T1_T2_lS8_S8_lT3_lS8_S8_lS9_T4_lS8_S8_l.num_agpr, 0
	.set _ZN9rocsolver6v33100L16mfma_gemm_kernelI19rocblas_complex_numIdEiS3_PS3_PKS4_S4_EEv18rocblas_operation_S7_T0_S8_S8_T1_T2_lS8_S8_lT3_lS8_S8_lS9_T4_lS8_S8_l.numbered_sgpr, 0
	.set _ZN9rocsolver6v33100L16mfma_gemm_kernelI19rocblas_complex_numIdEiS3_PS3_PKS4_S4_EEv18rocblas_operation_S7_T0_S8_S8_T1_T2_lS8_S8_lT3_lS8_S8_lS9_T4_lS8_S8_l.num_named_barrier, 0
	.set _ZN9rocsolver6v33100L16mfma_gemm_kernelI19rocblas_complex_numIdEiS3_PS3_PKS4_S4_EEv18rocblas_operation_S7_T0_S8_S8_T1_T2_lS8_S8_lT3_lS8_S8_lS9_T4_lS8_S8_l.private_seg_size, 0
	.set _ZN9rocsolver6v33100L16mfma_gemm_kernelI19rocblas_complex_numIdEiS3_PS3_PKS4_S4_EEv18rocblas_operation_S7_T0_S8_S8_T1_T2_lS8_S8_lT3_lS8_S8_lS9_T4_lS8_S8_l.uses_vcc, 0
	.set _ZN9rocsolver6v33100L16mfma_gemm_kernelI19rocblas_complex_numIdEiS3_PS3_PKS4_S4_EEv18rocblas_operation_S7_T0_S8_S8_T1_T2_lS8_S8_lT3_lS8_S8_lS9_T4_lS8_S8_l.uses_flat_scratch, 0
	.set _ZN9rocsolver6v33100L16mfma_gemm_kernelI19rocblas_complex_numIdEiS3_PS3_PKS4_S4_EEv18rocblas_operation_S7_T0_S8_S8_T1_T2_lS8_S8_lT3_lS8_S8_lS9_T4_lS8_S8_l.has_dyn_sized_stack, 0
	.set _ZN9rocsolver6v33100L16mfma_gemm_kernelI19rocblas_complex_numIdEiS3_PS3_PKS4_S4_EEv18rocblas_operation_S7_T0_S8_S8_T1_T2_lS8_S8_lT3_lS8_S8_lS9_T4_lS8_S8_l.has_recursion, 0
	.set _ZN9rocsolver6v33100L16mfma_gemm_kernelI19rocblas_complex_numIdEiS3_PS3_PKS4_S4_EEv18rocblas_operation_S7_T0_S8_S8_T1_T2_lS8_S8_lT3_lS8_S8_lS9_T4_lS8_S8_l.has_indirect_call, 0
	.section	.AMDGPU.csdata,"",@progbits
; Kernel info:
; codeLenInByte = 4
; TotalNumSgprs: 4
; NumVgprs: 0
; ScratchSize: 0
; MemoryBound: 0
; FloatMode: 240
; IeeeMode: 1
; LDSByteSize: 0 bytes/workgroup (compile time only)
; SGPRBlocks: 0
; VGPRBlocks: 0
; NumSGPRsForWavesPerEU: 4
; NumVGPRsForWavesPerEU: 1
; Occupancy: 10
; WaveLimiterHint : 0
; COMPUTE_PGM_RSRC2:SCRATCH_EN: 0
; COMPUTE_PGM_RSRC2:USER_SGPR: 6
; COMPUTE_PGM_RSRC2:TRAP_HANDLER: 0
; COMPUTE_PGM_RSRC2:TGID_X_EN: 1
; COMPUTE_PGM_RSRC2:TGID_Y_EN: 0
; COMPUTE_PGM_RSRC2:TGID_Z_EN: 0
; COMPUTE_PGM_RSRC2:TIDIG_COMP_CNT: 0
	.section	.text._ZN9rocsolver6v33100L11gemm_kernelI19rocblas_complex_numIdEiPKS3_PS3_PKS6_S6_EEvT0_S9_S9_T1_bT2_lS9_S9_lbT3_lS9_S9_lSA_T4_lS9_S9_l,"axG",@progbits,_ZN9rocsolver6v33100L11gemm_kernelI19rocblas_complex_numIdEiPKS3_PS3_PKS6_S6_EEvT0_S9_S9_T1_bT2_lS9_S9_lbT3_lS9_S9_lSA_T4_lS9_S9_l,comdat
	.globl	_ZN9rocsolver6v33100L11gemm_kernelI19rocblas_complex_numIdEiPKS3_PS3_PKS6_S6_EEvT0_S9_S9_T1_bT2_lS9_S9_lbT3_lS9_S9_lSA_T4_lS9_S9_l ; -- Begin function _ZN9rocsolver6v33100L11gemm_kernelI19rocblas_complex_numIdEiPKS3_PS3_PKS6_S6_EEvT0_S9_S9_T1_bT2_lS9_S9_lbT3_lS9_S9_lSA_T4_lS9_S9_l
	.p2align	8
	.type	_ZN9rocsolver6v33100L11gemm_kernelI19rocblas_complex_numIdEiPKS3_PS3_PKS6_S6_EEvT0_S9_S9_T1_bT2_lS9_S9_lbT3_lS9_S9_lSA_T4_lS9_S9_l,@function
_ZN9rocsolver6v33100L11gemm_kernelI19rocblas_complex_numIdEiPKS3_PS3_PKS6_S6_EEvT0_S9_S9_T1_bT2_lS9_S9_lbT3_lS9_S9_lSA_T4_lS9_S9_l: ; @_ZN9rocsolver6v33100L11gemm_kernelI19rocblas_complex_numIdEiPKS3_PS3_PKS6_S6_EEvT0_S9_S9_T1_bT2_lS9_S9_lbT3_lS9_S9_lSA_T4_lS9_S9_l
; %bb.0:
	s_load_dword s0, s[4:5], 0x9c
	s_load_dwordx4 s[24:27], s[4:5], 0x0
	s_waitcnt lgkmcnt(0)
	s_lshr_b32 s1, s0, 16
	s_and_b32 s0, s0, 0xffff
	s_mul_i32 s6, s6, s0
	s_mul_i32 s7, s7, s1
	v_add_u32_e32 v9, s6, v0
	v_add_u32_e32 v8, s7, v1
	v_cmp_gt_i32_e32 vcc, s24, v9
	v_cmp_gt_i32_e64 s[0:1], s25, v8
	s_and_b64 s[0:1], vcc, s[0:1]
	s_and_saveexec_b64 s[2:3], s[0:1]
	s_cbranch_execz .LBB27_6
; %bb.1:
	s_load_dwordx2 s[6:7], s[4:5], 0x78
	s_load_dwordx2 s[10:11], s[4:5], 0x10
	s_load_dwordx4 s[20:23], s[4:5], 0x68
	s_ashr_i32 s9, s8, 31
	s_cmp_lt_i32 s26, 1
	s_cbranch_scc1 .LBB27_4
; %bb.2:
	s_load_dwordx4 s[0:3], s[4:5], 0x48
	s_load_dword s27, s[4:5], 0x40
	s_load_dword s30, s[4:5], 0x18
	s_load_dwordx8 s[12:19], s[4:5], 0x20
	s_lshl_b64 s[24:25], s[8:9], 3
	s_waitcnt lgkmcnt(0)
	s_add_u32 s0, s0, s24
	s_addc_u32 s1, s1, s25
	s_load_dwordx2 s[24:25], s[4:5], 0x58
	s_load_dwordx2 s[28:29], s[0:1], 0x0
	s_bitcmp1_b32 s30, 0
	s_cselect_b64 vcc, -1, 0
	s_bitcmp1_b32 s27, 0
	s_waitcnt lgkmcnt(0)
	v_mul_lo_u32 v0, v8, s25
	s_cselect_b64 s[0:1], -1, 0
	s_lshl_b64 s[2:3], s[2:3], 4
	s_add_u32 s2, s28, s2
	v_ashrrev_i32_e32 v1, 31, v0
	v_lshlrev_b64 v[0:1], 4, v[0:1]
	s_addc_u32 s3, s29, s3
	v_mov_b32_e32 v3, s3
	v_add_co_u32_e64 v4, s[2:3], s2, v0
	v_addc_co_u32_e64 v5, s[2:3], v3, v1, s[2:3]
	s_mul_i32 s2, s18, s9
	s_mul_hi_u32 s3, s18, s8
	v_mul_lo_u32 v2, v9, s16
	s_add_i32 s2, s3, s2
	s_mul_i32 s3, s19, s8
	s_ashr_i32 s25, s24, 31
	s_add_i32 s3, s2, s3
	s_mul_i32 s2, s18, s8
	s_lshl_b64 s[24:25], s[24:25], 4
	s_lshl_b64 s[2:3], s[2:3], 4
	;; [unrolled: 1-line block ×3, first 2 shown]
	s_add_u32 s2, s2, s14
	s_addc_u32 s3, s3, s15
	v_ashrrev_i32_e32 v3, 31, v2
	v_lshlrev_b64 v[0:1], 4, v[2:3]
	s_add_u32 s2, s12, s2
	s_addc_u32 s3, s13, s3
	v_mov_b32_e32 v2, s3
	v_add_co_u32_e64 v0, s[2:3], s2, v0
	v_addc_co_u32_e64 v1, s[2:3], v2, v1, s[2:3]
	v_add_co_u32_e64 v6, s[2:3], 8, v0
	v_addc_co_u32_e64 v7, s[2:3], 0, v1, s[2:3]
	s_ashr_i32 s3, s17, 31
	s_mov_b32 s2, s17
	s_lshl_b64 s[12:13], s[2:3], 4
	v_mov_b32_e32 v0, 0
	v_mov_b32_e32 v2, 0
	v_mov_b32_e32 v1, 0
	v_mov_b32_e32 v10, s25
	v_mov_b32_e32 v3, 0
	v_mov_b32_e32 v11, s13
.LBB27_3:                               ; =>This Inner Loop Header: Depth=1
	global_load_dwordx4 v[12:15], v[6:7], off offset:-8
	flat_load_dwordx4 v[16:19], v[4:5]
	v_add_co_u32_e64 v4, s[2:3], s24, v4
	v_addc_co_u32_e64 v5, s[2:3], v5, v10, s[2:3]
	s_add_i32 s26, s26, -1
	v_add_co_u32_e64 v6, s[2:3], s12, v6
	s_cmp_eq_u32 s26, 0
	v_addc_co_u32_e64 v7, s[2:3], v7, v11, s[2:3]
	s_waitcnt vmcnt(0)
	v_xor_b32_e32 v20, 0x80000000, v15
	s_waitcnt lgkmcnt(0)
	v_xor_b32_e32 v21, 0x80000000, v19
	v_cndmask_b32_e32 v15, v15, v20, vcc
	v_cndmask_b32_e64 v19, v19, v21, s[0:1]
	v_mul_f64 v[20:21], v[14:15], v[18:19]
	v_mul_f64 v[14:15], v[14:15], v[16:17]
	v_fma_f64 v[20:21], v[12:13], v[16:17], -v[20:21]
	v_fma_f64 v[12:13], v[12:13], v[18:19], v[14:15]
	v_add_f64 v[2:3], v[2:3], v[20:21]
	v_add_f64 v[0:1], v[0:1], v[12:13]
	s_cbranch_scc0 .LBB27_3
	s_branch .LBB27_5
.LBB27_4:
	v_mov_b32_e32 v0, 0
	v_mov_b32_e32 v2, 0
	;; [unrolled: 1-line block ×4, first 2 shown]
.LBB27_5:
	s_waitcnt lgkmcnt(0)
	s_load_dwordx4 s[12:15], s[10:11], 0x0
	s_load_dwordx4 s[0:3], s[20:21], 0x0
                                        ; kill: killed $sgpr20_sgpr21
                                        ; kill: killed $sgpr10_sgpr11
	s_load_dwordx4 s[16:19], s[4:5], 0x80
	s_waitcnt lgkmcnt(0)
	v_mul_f64 v[10:11], s[14:15], v[0:1]
	v_mul_f64 v[0:1], s[12:13], v[0:1]
	s_mul_i32 s5, s18, s9
	s_mul_hi_u32 s9, s18, s8
	s_mul_i32 s10, s19, s8
	v_mul_lo_u32 v4, v9, s16
	s_add_i32 s5, s9, s5
	s_mul_i32 s4, s18, s8
	s_add_i32 s5, s5, s10
	s_lshl_b64 s[4:5], s[4:5], 4
	s_add_u32 s8, s22, s4
	s_addc_u32 s9, s23, s5
	v_mad_u64_u32 v[4:5], s[4:5], v8, s17, v[4:5]
	s_lshl_b64 s[4:5], s[6:7], 4
	s_add_u32 s4, s8, s4
	v_ashrrev_i32_e32 v5, 31, v4
	v_lshlrev_b64 v[4:5], 4, v[4:5]
	s_addc_u32 s5, s9, s5
	v_mov_b32_e32 v6, s5
	v_add_co_u32_e32 v8, vcc, s4, v4
	v_addc_co_u32_e32 v9, vcc, v6, v5, vcc
	global_load_dwordx4 v[4:7], v[8:9], off
	v_fma_f64 v[10:11], s[12:13], v[2:3], -v[10:11]
	v_fma_f64 v[2:3], s[14:15], v[2:3], v[0:1]
	s_waitcnt vmcnt(0)
	v_mul_f64 v[12:13], s[2:3], v[6:7]
	v_mul_f64 v[6:7], s[0:1], v[6:7]
	v_fma_f64 v[0:1], s[0:1], v[4:5], -v[12:13]
	v_fma_f64 v[4:5], s[2:3], v[4:5], v[6:7]
	v_add_f64 v[0:1], v[10:11], v[0:1]
	v_add_f64 v[2:3], v[2:3], v[4:5]
	global_store_dwordx4 v[8:9], v[0:3], off
.LBB27_6:
	s_endpgm
	.section	.rodata,"a",@progbits
	.p2align	6, 0x0
	.amdhsa_kernel _ZN9rocsolver6v33100L11gemm_kernelI19rocblas_complex_numIdEiPKS3_PS3_PKS6_S6_EEvT0_S9_S9_T1_bT2_lS9_S9_lbT3_lS9_S9_lSA_T4_lS9_S9_l
		.amdhsa_group_segment_fixed_size 0
		.amdhsa_private_segment_fixed_size 0
		.amdhsa_kernarg_size 400
		.amdhsa_user_sgpr_count 6
		.amdhsa_user_sgpr_private_segment_buffer 1
		.amdhsa_user_sgpr_dispatch_ptr 0
		.amdhsa_user_sgpr_queue_ptr 0
		.amdhsa_user_sgpr_kernarg_segment_ptr 1
		.amdhsa_user_sgpr_dispatch_id 0
		.amdhsa_user_sgpr_flat_scratch_init 0
		.amdhsa_user_sgpr_private_segment_size 0
		.amdhsa_uses_dynamic_stack 0
		.amdhsa_system_sgpr_private_segment_wavefront_offset 0
		.amdhsa_system_sgpr_workgroup_id_x 1
		.amdhsa_system_sgpr_workgroup_id_y 1
		.amdhsa_system_sgpr_workgroup_id_z 1
		.amdhsa_system_sgpr_workgroup_info 0
		.amdhsa_system_vgpr_workitem_id 1
		.amdhsa_next_free_vgpr 22
		.amdhsa_next_free_sgpr 31
		.amdhsa_reserve_vcc 1
		.amdhsa_reserve_flat_scratch 0
		.amdhsa_float_round_mode_32 0
		.amdhsa_float_round_mode_16_64 0
		.amdhsa_float_denorm_mode_32 3
		.amdhsa_float_denorm_mode_16_64 3
		.amdhsa_dx10_clamp 1
		.amdhsa_ieee_mode 1
		.amdhsa_fp16_overflow 0
		.amdhsa_exception_fp_ieee_invalid_op 0
		.amdhsa_exception_fp_denorm_src 0
		.amdhsa_exception_fp_ieee_div_zero 0
		.amdhsa_exception_fp_ieee_overflow 0
		.amdhsa_exception_fp_ieee_underflow 0
		.amdhsa_exception_fp_ieee_inexact 0
		.amdhsa_exception_int_div_zero 0
	.end_amdhsa_kernel
	.section	.text._ZN9rocsolver6v33100L11gemm_kernelI19rocblas_complex_numIdEiPKS3_PS3_PKS6_S6_EEvT0_S9_S9_T1_bT2_lS9_S9_lbT3_lS9_S9_lSA_T4_lS9_S9_l,"axG",@progbits,_ZN9rocsolver6v33100L11gemm_kernelI19rocblas_complex_numIdEiPKS3_PS3_PKS6_S6_EEvT0_S9_S9_T1_bT2_lS9_S9_lbT3_lS9_S9_lSA_T4_lS9_S9_l,comdat
.Lfunc_end27:
	.size	_ZN9rocsolver6v33100L11gemm_kernelI19rocblas_complex_numIdEiPKS3_PS3_PKS6_S6_EEvT0_S9_S9_T1_bT2_lS9_S9_lbT3_lS9_S9_lSA_T4_lS9_S9_l, .Lfunc_end27-_ZN9rocsolver6v33100L11gemm_kernelI19rocblas_complex_numIdEiPKS3_PS3_PKS6_S6_EEvT0_S9_S9_T1_bT2_lS9_S9_lbT3_lS9_S9_lSA_T4_lS9_S9_l
                                        ; -- End function
	.set _ZN9rocsolver6v33100L11gemm_kernelI19rocblas_complex_numIdEiPKS3_PS3_PKS6_S6_EEvT0_S9_S9_T1_bT2_lS9_S9_lbT3_lS9_S9_lSA_T4_lS9_S9_l.num_vgpr, 22
	.set _ZN9rocsolver6v33100L11gemm_kernelI19rocblas_complex_numIdEiPKS3_PS3_PKS6_S6_EEvT0_S9_S9_T1_bT2_lS9_S9_lbT3_lS9_S9_lSA_T4_lS9_S9_l.num_agpr, 0
	.set _ZN9rocsolver6v33100L11gemm_kernelI19rocblas_complex_numIdEiPKS3_PS3_PKS6_S6_EEvT0_S9_S9_T1_bT2_lS9_S9_lbT3_lS9_S9_lSA_T4_lS9_S9_l.numbered_sgpr, 31
	.set _ZN9rocsolver6v33100L11gemm_kernelI19rocblas_complex_numIdEiPKS3_PS3_PKS6_S6_EEvT0_S9_S9_T1_bT2_lS9_S9_lbT3_lS9_S9_lSA_T4_lS9_S9_l.num_named_barrier, 0
	.set _ZN9rocsolver6v33100L11gemm_kernelI19rocblas_complex_numIdEiPKS3_PS3_PKS6_S6_EEvT0_S9_S9_T1_bT2_lS9_S9_lbT3_lS9_S9_lSA_T4_lS9_S9_l.private_seg_size, 0
	.set _ZN9rocsolver6v33100L11gemm_kernelI19rocblas_complex_numIdEiPKS3_PS3_PKS6_S6_EEvT0_S9_S9_T1_bT2_lS9_S9_lbT3_lS9_S9_lSA_T4_lS9_S9_l.uses_vcc, 1
	.set _ZN9rocsolver6v33100L11gemm_kernelI19rocblas_complex_numIdEiPKS3_PS3_PKS6_S6_EEvT0_S9_S9_T1_bT2_lS9_S9_lbT3_lS9_S9_lSA_T4_lS9_S9_l.uses_flat_scratch, 0
	.set _ZN9rocsolver6v33100L11gemm_kernelI19rocblas_complex_numIdEiPKS3_PS3_PKS6_S6_EEvT0_S9_S9_T1_bT2_lS9_S9_lbT3_lS9_S9_lSA_T4_lS9_S9_l.has_dyn_sized_stack, 0
	.set _ZN9rocsolver6v33100L11gemm_kernelI19rocblas_complex_numIdEiPKS3_PS3_PKS6_S6_EEvT0_S9_S9_T1_bT2_lS9_S9_lbT3_lS9_S9_lSA_T4_lS9_S9_l.has_recursion, 0
	.set _ZN9rocsolver6v33100L11gemm_kernelI19rocblas_complex_numIdEiPKS3_PS3_PKS6_S6_EEvT0_S9_S9_T1_bT2_lS9_S9_lbT3_lS9_S9_lSA_T4_lS9_S9_l.has_indirect_call, 0
	.section	.AMDGPU.csdata,"",@progbits
; Kernel info:
; codeLenInByte = 780
; TotalNumSgprs: 35
; NumVgprs: 22
; ScratchSize: 0
; MemoryBound: 0
; FloatMode: 240
; IeeeMode: 1
; LDSByteSize: 0 bytes/workgroup (compile time only)
; SGPRBlocks: 4
; VGPRBlocks: 5
; NumSGPRsForWavesPerEU: 35
; NumVGPRsForWavesPerEU: 22
; Occupancy: 10
; WaveLimiterHint : 1
; COMPUTE_PGM_RSRC2:SCRATCH_EN: 0
; COMPUTE_PGM_RSRC2:USER_SGPR: 6
; COMPUTE_PGM_RSRC2:TRAP_HANDLER: 0
; COMPUTE_PGM_RSRC2:TGID_X_EN: 1
; COMPUTE_PGM_RSRC2:TGID_Y_EN: 1
; COMPUTE_PGM_RSRC2:TGID_Z_EN: 1
; COMPUTE_PGM_RSRC2:TIDIG_COMP_CNT: 1
	.section	.text._ZN9rocsolver6v33100L11gemm_kernelI19rocblas_complex_numIdEiS3_PS3_PKS4_S4_EEvT0_S7_S7_T1_bT2_lS7_S7_lbT3_lS7_S7_lS8_T4_lS7_S7_l,"axG",@progbits,_ZN9rocsolver6v33100L11gemm_kernelI19rocblas_complex_numIdEiS3_PS3_PKS4_S4_EEvT0_S7_S7_T1_bT2_lS7_S7_lbT3_lS7_S7_lS8_T4_lS7_S7_l,comdat
	.globl	_ZN9rocsolver6v33100L11gemm_kernelI19rocblas_complex_numIdEiS3_PS3_PKS4_S4_EEvT0_S7_S7_T1_bT2_lS7_S7_lbT3_lS7_S7_lS8_T4_lS7_S7_l ; -- Begin function _ZN9rocsolver6v33100L11gemm_kernelI19rocblas_complex_numIdEiS3_PS3_PKS4_S4_EEvT0_S7_S7_T1_bT2_lS7_S7_lbT3_lS7_S7_lS8_T4_lS7_S7_l
	.p2align	8
	.type	_ZN9rocsolver6v33100L11gemm_kernelI19rocblas_complex_numIdEiS3_PS3_PKS4_S4_EEvT0_S7_S7_T1_bT2_lS7_S7_lbT3_lS7_S7_lS8_T4_lS7_S7_l,@function
_ZN9rocsolver6v33100L11gemm_kernelI19rocblas_complex_numIdEiS3_PS3_PKS4_S4_EEvT0_S7_S7_T1_bT2_lS7_S7_lbT3_lS7_S7_lS8_T4_lS7_S7_l: ; @_ZN9rocsolver6v33100L11gemm_kernelI19rocblas_complex_numIdEiS3_PS3_PKS4_S4_EEvT0_S7_S7_T1_bT2_lS7_S7_lbT3_lS7_S7_lS8_T4_lS7_S7_l
; %bb.0:
	s_load_dword s0, s[4:5], 0xac
	s_load_dwordx4 s[20:23], s[4:5], 0x0
	s_waitcnt lgkmcnt(0)
	s_lshr_b32 s1, s0, 16
	s_and_b32 s0, s0, 0xffff
	s_mul_i32 s6, s6, s0
	s_mul_i32 s7, s7, s1
	v_add_u32_e32 v9, s6, v0
	v_add_u32_e32 v8, s7, v1
	v_cmp_gt_i32_e32 vcc, s20, v9
	v_cmp_gt_i32_e64 s[0:1], s21, v8
	s_and_b64 s[0:1], vcc, s[0:1]
	s_and_saveexec_b64 s[2:3], s[0:1]
	s_cbranch_execz .LBB28_6
; %bb.1:
	s_ashr_i32 s9, s8, 31
	s_cmp_lt_i32 s22, 1
	s_cbranch_scc1 .LBB28_4
; %bb.2:
	s_load_dwordx4 s[0:3], s[4:5], 0x50
	s_load_dword s20, s[4:5], 0x48
	s_load_dword s21, s[4:5], 0x20
	s_load_dwordx8 s[12:19], s[4:5], 0x28
	s_lshl_b64 s[6:7], s[8:9], 3
	s_waitcnt lgkmcnt(0)
	s_add_u32 s0, s0, s6
	s_addc_u32 s1, s1, s7
	s_load_dwordx2 s[6:7], s[4:5], 0x60
	s_load_dwordx2 s[10:11], s[0:1], 0x0
	s_bitcmp1_b32 s21, 0
	s_cselect_b64 vcc, -1, 0
	s_bitcmp1_b32 s20, 0
	s_waitcnt lgkmcnt(0)
	v_mul_lo_u32 v0, v8, s7
	s_cselect_b64 s[0:1], -1, 0
	s_lshl_b64 s[2:3], s[2:3], 4
	s_add_u32 s2, s10, s2
	v_ashrrev_i32_e32 v1, 31, v0
	v_lshlrev_b64 v[0:1], 4, v[0:1]
	s_addc_u32 s3, s11, s3
	v_mov_b32_e32 v3, s3
	v_add_co_u32_e64 v4, s[2:3], s2, v0
	v_addc_co_u32_e64 v5, s[2:3], v3, v1, s[2:3]
	s_mul_i32 s2, s18, s9
	s_mul_hi_u32 s3, s18, s8
	v_mul_lo_u32 v2, v9, s16
	s_add_i32 s2, s3, s2
	s_mul_i32 s3, s19, s8
	s_ashr_i32 s7, s6, 31
	s_add_i32 s3, s2, s3
	s_mul_i32 s2, s18, s8
	s_lshl_b64 s[6:7], s[6:7], 4
	s_lshl_b64 s[2:3], s[2:3], 4
	;; [unrolled: 1-line block ×3, first 2 shown]
	s_add_u32 s2, s2, s10
	s_addc_u32 s3, s3, s11
	v_ashrrev_i32_e32 v3, 31, v2
	v_lshlrev_b64 v[0:1], 4, v[2:3]
	s_add_u32 s2, s12, s2
	s_addc_u32 s3, s13, s3
	v_mov_b32_e32 v2, s3
	v_add_co_u32_e64 v0, s[2:3], s2, v0
	v_addc_co_u32_e64 v1, s[2:3], v2, v1, s[2:3]
	v_add_co_u32_e64 v6, s[2:3], 8, v0
	v_addc_co_u32_e64 v7, s[2:3], 0, v1, s[2:3]
	s_ashr_i32 s3, s17, 31
	s_mov_b32 s2, s17
	s_lshl_b64 s[10:11], s[2:3], 4
	v_mov_b32_e32 v0, 0
	v_mov_b32_e32 v2, 0
	;; [unrolled: 1-line block ×6, first 2 shown]
.LBB28_3:                               ; =>This Inner Loop Header: Depth=1
	global_load_dwordx4 v[12:15], v[6:7], off offset:-8
	flat_load_dwordx4 v[16:19], v[4:5]
	v_add_co_u32_e64 v4, s[2:3], s6, v4
	v_addc_co_u32_e64 v5, s[2:3], v5, v10, s[2:3]
	s_add_i32 s22, s22, -1
	v_add_co_u32_e64 v6, s[2:3], s10, v6
	s_cmp_eq_u32 s22, 0
	v_addc_co_u32_e64 v7, s[2:3], v7, v11, s[2:3]
	s_waitcnt vmcnt(0)
	v_xor_b32_e32 v20, 0x80000000, v15
	s_waitcnt lgkmcnt(0)
	v_xor_b32_e32 v21, 0x80000000, v19
	v_cndmask_b32_e32 v15, v15, v20, vcc
	v_cndmask_b32_e64 v19, v19, v21, s[0:1]
	v_mul_f64 v[20:21], v[14:15], v[18:19]
	v_mul_f64 v[14:15], v[14:15], v[16:17]
	v_fma_f64 v[20:21], v[12:13], v[16:17], -v[20:21]
	v_fma_f64 v[12:13], v[12:13], v[18:19], v[14:15]
	v_add_f64 v[2:3], v[2:3], v[20:21]
	v_add_f64 v[0:1], v[0:1], v[12:13]
	s_cbranch_scc0 .LBB28_3
	s_branch .LBB28_5
.LBB28_4:
	v_mov_b32_e32 v0, 0
	v_mov_b32_e32 v2, 0
	;; [unrolled: 1-line block ×4, first 2 shown]
.LBB28_5:
	s_load_dwordx8 s[12:19], s[4:5], 0x70
	s_load_dwordx4 s[0:3], s[4:5], 0x10
	s_nop 0
	s_load_dwordx4 s[4:7], s[4:5], 0x90
	s_waitcnt lgkmcnt(0)
	v_mul_f64 v[10:11], s[2:3], v[0:1]
	v_mul_lo_u32 v4, v9, s4
	s_mul_i32 s9, s6, s9
	s_mul_hi_u32 s10, s6, s8
	s_mul_i32 s7, s7, s8
	s_add_i32 s4, s10, s9
	s_add_i32 s7, s4, s7
	v_mad_u64_u32 v[4:5], s[4:5], v8, s5, v[4:5]
	s_mul_i32 s6, s6, s8
	s_lshl_b64 s[6:7], s[6:7], 4
	s_add_u32 s6, s16, s6
	s_addc_u32 s7, s17, s7
	s_lshl_b64 s[4:5], s[18:19], 4
	v_ashrrev_i32_e32 v5, 31, v4
	s_add_u32 s4, s6, s4
	v_lshlrev_b64 v[4:5], 4, v[4:5]
	s_addc_u32 s5, s7, s5
	v_mov_b32_e32 v6, s5
	v_add_co_u32_e32 v8, vcc, s4, v4
	v_addc_co_u32_e32 v9, vcc, v6, v5, vcc
	global_load_dwordx4 v[4:7], v[8:9], off
	v_mul_f64 v[0:1], s[0:1], v[0:1]
	v_fma_f64 v[10:11], s[0:1], v[2:3], -v[10:11]
	v_fma_f64 v[2:3], s[2:3], v[2:3], v[0:1]
	s_waitcnt vmcnt(0)
	v_mul_f64 v[12:13], s[14:15], v[6:7]
	v_mul_f64 v[6:7], s[12:13], v[6:7]
	v_fma_f64 v[0:1], s[12:13], v[4:5], -v[12:13]
	v_fma_f64 v[4:5], s[14:15], v[4:5], v[6:7]
	v_add_f64 v[0:1], v[10:11], v[0:1]
	v_add_f64 v[2:3], v[2:3], v[4:5]
	global_store_dwordx4 v[8:9], v[0:3], off
.LBB28_6:
	s_endpgm
	.section	.rodata,"a",@progbits
	.p2align	6, 0x0
	.amdhsa_kernel _ZN9rocsolver6v33100L11gemm_kernelI19rocblas_complex_numIdEiS3_PS3_PKS4_S4_EEvT0_S7_S7_T1_bT2_lS7_S7_lbT3_lS7_S7_lS8_T4_lS7_S7_l
		.amdhsa_group_segment_fixed_size 0
		.amdhsa_private_segment_fixed_size 0
		.amdhsa_kernarg_size 416
		.amdhsa_user_sgpr_count 6
		.amdhsa_user_sgpr_private_segment_buffer 1
		.amdhsa_user_sgpr_dispatch_ptr 0
		.amdhsa_user_sgpr_queue_ptr 0
		.amdhsa_user_sgpr_kernarg_segment_ptr 1
		.amdhsa_user_sgpr_dispatch_id 0
		.amdhsa_user_sgpr_flat_scratch_init 0
		.amdhsa_user_sgpr_private_segment_size 0
		.amdhsa_uses_dynamic_stack 0
		.amdhsa_system_sgpr_private_segment_wavefront_offset 0
		.amdhsa_system_sgpr_workgroup_id_x 1
		.amdhsa_system_sgpr_workgroup_id_y 1
		.amdhsa_system_sgpr_workgroup_id_z 1
		.amdhsa_system_sgpr_workgroup_info 0
		.amdhsa_system_vgpr_workitem_id 1
		.amdhsa_next_free_vgpr 22
		.amdhsa_next_free_sgpr 24
		.amdhsa_reserve_vcc 1
		.amdhsa_reserve_flat_scratch 0
		.amdhsa_float_round_mode_32 0
		.amdhsa_float_round_mode_16_64 0
		.amdhsa_float_denorm_mode_32 3
		.amdhsa_float_denorm_mode_16_64 3
		.amdhsa_dx10_clamp 1
		.amdhsa_ieee_mode 1
		.amdhsa_fp16_overflow 0
		.amdhsa_exception_fp_ieee_invalid_op 0
		.amdhsa_exception_fp_denorm_src 0
		.amdhsa_exception_fp_ieee_div_zero 0
		.amdhsa_exception_fp_ieee_overflow 0
		.amdhsa_exception_fp_ieee_underflow 0
		.amdhsa_exception_fp_ieee_inexact 0
		.amdhsa_exception_int_div_zero 0
	.end_amdhsa_kernel
	.section	.text._ZN9rocsolver6v33100L11gemm_kernelI19rocblas_complex_numIdEiS3_PS3_PKS4_S4_EEvT0_S7_S7_T1_bT2_lS7_S7_lbT3_lS7_S7_lS8_T4_lS7_S7_l,"axG",@progbits,_ZN9rocsolver6v33100L11gemm_kernelI19rocblas_complex_numIdEiS3_PS3_PKS4_S4_EEvT0_S7_S7_T1_bT2_lS7_S7_lbT3_lS7_S7_lS8_T4_lS7_S7_l,comdat
.Lfunc_end28:
	.size	_ZN9rocsolver6v33100L11gemm_kernelI19rocblas_complex_numIdEiS3_PS3_PKS4_S4_EEvT0_S7_S7_T1_bT2_lS7_S7_lbT3_lS7_S7_lS8_T4_lS7_S7_l, .Lfunc_end28-_ZN9rocsolver6v33100L11gemm_kernelI19rocblas_complex_numIdEiS3_PS3_PKS4_S4_EEvT0_S7_S7_T1_bT2_lS7_S7_lbT3_lS7_S7_lS8_T4_lS7_S7_l
                                        ; -- End function
	.set _ZN9rocsolver6v33100L11gemm_kernelI19rocblas_complex_numIdEiS3_PS3_PKS4_S4_EEvT0_S7_S7_T1_bT2_lS7_S7_lbT3_lS7_S7_lS8_T4_lS7_S7_l.num_vgpr, 22
	.set _ZN9rocsolver6v33100L11gemm_kernelI19rocblas_complex_numIdEiS3_PS3_PKS4_S4_EEvT0_S7_S7_T1_bT2_lS7_S7_lbT3_lS7_S7_lS8_T4_lS7_S7_l.num_agpr, 0
	.set _ZN9rocsolver6v33100L11gemm_kernelI19rocblas_complex_numIdEiS3_PS3_PKS4_S4_EEvT0_S7_S7_T1_bT2_lS7_S7_lbT3_lS7_S7_lS8_T4_lS7_S7_l.numbered_sgpr, 24
	.set _ZN9rocsolver6v33100L11gemm_kernelI19rocblas_complex_numIdEiS3_PS3_PKS4_S4_EEvT0_S7_S7_T1_bT2_lS7_S7_lbT3_lS7_S7_lS8_T4_lS7_S7_l.num_named_barrier, 0
	.set _ZN9rocsolver6v33100L11gemm_kernelI19rocblas_complex_numIdEiS3_PS3_PKS4_S4_EEvT0_S7_S7_T1_bT2_lS7_S7_lbT3_lS7_S7_lS8_T4_lS7_S7_l.private_seg_size, 0
	.set _ZN9rocsolver6v33100L11gemm_kernelI19rocblas_complex_numIdEiS3_PS3_PKS4_S4_EEvT0_S7_S7_T1_bT2_lS7_S7_lbT3_lS7_S7_lS8_T4_lS7_S7_l.uses_vcc, 1
	.set _ZN9rocsolver6v33100L11gemm_kernelI19rocblas_complex_numIdEiS3_PS3_PKS4_S4_EEvT0_S7_S7_T1_bT2_lS7_S7_lbT3_lS7_S7_lS8_T4_lS7_S7_l.uses_flat_scratch, 0
	.set _ZN9rocsolver6v33100L11gemm_kernelI19rocblas_complex_numIdEiS3_PS3_PKS4_S4_EEvT0_S7_S7_T1_bT2_lS7_S7_lbT3_lS7_S7_lS8_T4_lS7_S7_l.has_dyn_sized_stack, 0
	.set _ZN9rocsolver6v33100L11gemm_kernelI19rocblas_complex_numIdEiS3_PS3_PKS4_S4_EEvT0_S7_S7_T1_bT2_lS7_S7_lbT3_lS7_S7_lS8_T4_lS7_S7_l.has_recursion, 0
	.set _ZN9rocsolver6v33100L11gemm_kernelI19rocblas_complex_numIdEiS3_PS3_PKS4_S4_EEvT0_S7_S7_T1_bT2_lS7_S7_lbT3_lS7_S7_lS8_T4_lS7_S7_l.has_indirect_call, 0
	.section	.AMDGPU.csdata,"",@progbits
; Kernel info:
; codeLenInByte = 756
; TotalNumSgprs: 28
; NumVgprs: 22
; ScratchSize: 0
; MemoryBound: 0
; FloatMode: 240
; IeeeMode: 1
; LDSByteSize: 0 bytes/workgroup (compile time only)
; SGPRBlocks: 3
; VGPRBlocks: 5
; NumSGPRsForWavesPerEU: 28
; NumVGPRsForWavesPerEU: 22
; Occupancy: 10
; WaveLimiterHint : 1
; COMPUTE_PGM_RSRC2:SCRATCH_EN: 0
; COMPUTE_PGM_RSRC2:USER_SGPR: 6
; COMPUTE_PGM_RSRC2:TRAP_HANDLER: 0
; COMPUTE_PGM_RSRC2:TGID_X_EN: 1
; COMPUTE_PGM_RSRC2:TGID_Y_EN: 1
; COMPUTE_PGM_RSRC2:TGID_Z_EN: 1
; COMPUTE_PGM_RSRC2:TIDIG_COMP_CNT: 1
	.section	.text._ZN9rocsolver6v33100L16mfma_gemm_kernelI19rocblas_complex_numIdEiPKS3_PS3_S6_PKS6_EEv18rocblas_operation_S9_T0_SA_SA_T1_T2_lSA_SA_lT3_lSA_SA_lSB_T4_lSA_SA_l,"axG",@progbits,_ZN9rocsolver6v33100L16mfma_gemm_kernelI19rocblas_complex_numIdEiPKS3_PS3_S6_PKS6_EEv18rocblas_operation_S9_T0_SA_SA_T1_T2_lSA_SA_lT3_lSA_SA_lSB_T4_lSA_SA_l,comdat
	.globl	_ZN9rocsolver6v33100L16mfma_gemm_kernelI19rocblas_complex_numIdEiPKS3_PS3_S6_PKS6_EEv18rocblas_operation_S9_T0_SA_SA_T1_T2_lSA_SA_lT3_lSA_SA_lSB_T4_lSA_SA_l ; -- Begin function _ZN9rocsolver6v33100L16mfma_gemm_kernelI19rocblas_complex_numIdEiPKS3_PS3_S6_PKS6_EEv18rocblas_operation_S9_T0_SA_SA_T1_T2_lSA_SA_lT3_lSA_SA_lSB_T4_lSA_SA_l
	.p2align	8
	.type	_ZN9rocsolver6v33100L16mfma_gemm_kernelI19rocblas_complex_numIdEiPKS3_PS3_S6_PKS6_EEv18rocblas_operation_S9_T0_SA_SA_T1_T2_lSA_SA_lT3_lSA_SA_lSB_T4_lSA_SA_l,@function
_ZN9rocsolver6v33100L16mfma_gemm_kernelI19rocblas_complex_numIdEiPKS3_PS3_S6_PKS6_EEv18rocblas_operation_S9_T0_SA_SA_T1_T2_lSA_SA_lT3_lSA_SA_lSB_T4_lSA_SA_l: ; @_ZN9rocsolver6v33100L16mfma_gemm_kernelI19rocblas_complex_numIdEiPKS3_PS3_S6_PKS6_EEv18rocblas_operation_S9_T0_SA_SA_T1_T2_lSA_SA_lT3_lSA_SA_lSB_T4_lSA_SA_l
; %bb.0:
	s_endpgm
	.section	.rodata,"a",@progbits
	.p2align	6, 0x0
	.amdhsa_kernel _ZN9rocsolver6v33100L16mfma_gemm_kernelI19rocblas_complex_numIdEiPKS3_PS3_S6_PKS6_EEv18rocblas_operation_S9_T0_SA_SA_T1_T2_lSA_SA_lT3_lSA_SA_lSB_T4_lSA_SA_l
		.amdhsa_group_segment_fixed_size 0
		.amdhsa_private_segment_fixed_size 0
		.amdhsa_kernarg_size 136
		.amdhsa_user_sgpr_count 6
		.amdhsa_user_sgpr_private_segment_buffer 1
		.amdhsa_user_sgpr_dispatch_ptr 0
		.amdhsa_user_sgpr_queue_ptr 0
		.amdhsa_user_sgpr_kernarg_segment_ptr 1
		.amdhsa_user_sgpr_dispatch_id 0
		.amdhsa_user_sgpr_flat_scratch_init 0
		.amdhsa_user_sgpr_private_segment_size 0
		.amdhsa_uses_dynamic_stack 0
		.amdhsa_system_sgpr_private_segment_wavefront_offset 0
		.amdhsa_system_sgpr_workgroup_id_x 1
		.amdhsa_system_sgpr_workgroup_id_y 0
		.amdhsa_system_sgpr_workgroup_id_z 0
		.amdhsa_system_sgpr_workgroup_info 0
		.amdhsa_system_vgpr_workitem_id 0
		.amdhsa_next_free_vgpr 1
		.amdhsa_next_free_sgpr 0
		.amdhsa_reserve_vcc 0
		.amdhsa_reserve_flat_scratch 0
		.amdhsa_float_round_mode_32 0
		.amdhsa_float_round_mode_16_64 0
		.amdhsa_float_denorm_mode_32 3
		.amdhsa_float_denorm_mode_16_64 3
		.amdhsa_dx10_clamp 1
		.amdhsa_ieee_mode 1
		.amdhsa_fp16_overflow 0
		.amdhsa_exception_fp_ieee_invalid_op 0
		.amdhsa_exception_fp_denorm_src 0
		.amdhsa_exception_fp_ieee_div_zero 0
		.amdhsa_exception_fp_ieee_overflow 0
		.amdhsa_exception_fp_ieee_underflow 0
		.amdhsa_exception_fp_ieee_inexact 0
		.amdhsa_exception_int_div_zero 0
	.end_amdhsa_kernel
	.section	.text._ZN9rocsolver6v33100L16mfma_gemm_kernelI19rocblas_complex_numIdEiPKS3_PS3_S6_PKS6_EEv18rocblas_operation_S9_T0_SA_SA_T1_T2_lSA_SA_lT3_lSA_SA_lSB_T4_lSA_SA_l,"axG",@progbits,_ZN9rocsolver6v33100L16mfma_gemm_kernelI19rocblas_complex_numIdEiPKS3_PS3_S6_PKS6_EEv18rocblas_operation_S9_T0_SA_SA_T1_T2_lSA_SA_lT3_lSA_SA_lSB_T4_lSA_SA_l,comdat
.Lfunc_end29:
	.size	_ZN9rocsolver6v33100L16mfma_gemm_kernelI19rocblas_complex_numIdEiPKS3_PS3_S6_PKS6_EEv18rocblas_operation_S9_T0_SA_SA_T1_T2_lSA_SA_lT3_lSA_SA_lSB_T4_lSA_SA_l, .Lfunc_end29-_ZN9rocsolver6v33100L16mfma_gemm_kernelI19rocblas_complex_numIdEiPKS3_PS3_S6_PKS6_EEv18rocblas_operation_S9_T0_SA_SA_T1_T2_lSA_SA_lT3_lSA_SA_lSB_T4_lSA_SA_l
                                        ; -- End function
	.set _ZN9rocsolver6v33100L16mfma_gemm_kernelI19rocblas_complex_numIdEiPKS3_PS3_S6_PKS6_EEv18rocblas_operation_S9_T0_SA_SA_T1_T2_lSA_SA_lT3_lSA_SA_lSB_T4_lSA_SA_l.num_vgpr, 0
	.set _ZN9rocsolver6v33100L16mfma_gemm_kernelI19rocblas_complex_numIdEiPKS3_PS3_S6_PKS6_EEv18rocblas_operation_S9_T0_SA_SA_T1_T2_lSA_SA_lT3_lSA_SA_lSB_T4_lSA_SA_l.num_agpr, 0
	.set _ZN9rocsolver6v33100L16mfma_gemm_kernelI19rocblas_complex_numIdEiPKS3_PS3_S6_PKS6_EEv18rocblas_operation_S9_T0_SA_SA_T1_T2_lSA_SA_lT3_lSA_SA_lSB_T4_lSA_SA_l.numbered_sgpr, 0
	.set _ZN9rocsolver6v33100L16mfma_gemm_kernelI19rocblas_complex_numIdEiPKS3_PS3_S6_PKS6_EEv18rocblas_operation_S9_T0_SA_SA_T1_T2_lSA_SA_lT3_lSA_SA_lSB_T4_lSA_SA_l.num_named_barrier, 0
	.set _ZN9rocsolver6v33100L16mfma_gemm_kernelI19rocblas_complex_numIdEiPKS3_PS3_S6_PKS6_EEv18rocblas_operation_S9_T0_SA_SA_T1_T2_lSA_SA_lT3_lSA_SA_lSB_T4_lSA_SA_l.private_seg_size, 0
	.set _ZN9rocsolver6v33100L16mfma_gemm_kernelI19rocblas_complex_numIdEiPKS3_PS3_S6_PKS6_EEv18rocblas_operation_S9_T0_SA_SA_T1_T2_lSA_SA_lT3_lSA_SA_lSB_T4_lSA_SA_l.uses_vcc, 0
	.set _ZN9rocsolver6v33100L16mfma_gemm_kernelI19rocblas_complex_numIdEiPKS3_PS3_S6_PKS6_EEv18rocblas_operation_S9_T0_SA_SA_T1_T2_lSA_SA_lT3_lSA_SA_lSB_T4_lSA_SA_l.uses_flat_scratch, 0
	.set _ZN9rocsolver6v33100L16mfma_gemm_kernelI19rocblas_complex_numIdEiPKS3_PS3_S6_PKS6_EEv18rocblas_operation_S9_T0_SA_SA_T1_T2_lSA_SA_lT3_lSA_SA_lSB_T4_lSA_SA_l.has_dyn_sized_stack, 0
	.set _ZN9rocsolver6v33100L16mfma_gemm_kernelI19rocblas_complex_numIdEiPKS3_PS3_S6_PKS6_EEv18rocblas_operation_S9_T0_SA_SA_T1_T2_lSA_SA_lT3_lSA_SA_lSB_T4_lSA_SA_l.has_recursion, 0
	.set _ZN9rocsolver6v33100L16mfma_gemm_kernelI19rocblas_complex_numIdEiPKS3_PS3_S6_PKS6_EEv18rocblas_operation_S9_T0_SA_SA_T1_T2_lSA_SA_lT3_lSA_SA_lSB_T4_lSA_SA_l.has_indirect_call, 0
	.section	.AMDGPU.csdata,"",@progbits
; Kernel info:
; codeLenInByte = 4
; TotalNumSgprs: 4
; NumVgprs: 0
; ScratchSize: 0
; MemoryBound: 0
; FloatMode: 240
; IeeeMode: 1
; LDSByteSize: 0 bytes/workgroup (compile time only)
; SGPRBlocks: 0
; VGPRBlocks: 0
; NumSGPRsForWavesPerEU: 4
; NumVGPRsForWavesPerEU: 1
; Occupancy: 10
; WaveLimiterHint : 0
; COMPUTE_PGM_RSRC2:SCRATCH_EN: 0
; COMPUTE_PGM_RSRC2:USER_SGPR: 6
; COMPUTE_PGM_RSRC2:TRAP_HANDLER: 0
; COMPUTE_PGM_RSRC2:TGID_X_EN: 1
; COMPUTE_PGM_RSRC2:TGID_Y_EN: 0
; COMPUTE_PGM_RSRC2:TGID_Z_EN: 0
; COMPUTE_PGM_RSRC2:TIDIG_COMP_CNT: 0
	.section	.text._ZN9rocsolver6v33100L16mfma_gemm_kernelI19rocblas_complex_numIdEiS3_PS3_S4_PKS4_EEv18rocblas_operation_S7_T0_S8_S8_T1_T2_lS8_S8_lT3_lS8_S8_lS9_T4_lS8_S8_l,"axG",@progbits,_ZN9rocsolver6v33100L16mfma_gemm_kernelI19rocblas_complex_numIdEiS3_PS3_S4_PKS4_EEv18rocblas_operation_S7_T0_S8_S8_T1_T2_lS8_S8_lT3_lS8_S8_lS9_T4_lS8_S8_l,comdat
	.globl	_ZN9rocsolver6v33100L16mfma_gemm_kernelI19rocblas_complex_numIdEiS3_PS3_S4_PKS4_EEv18rocblas_operation_S7_T0_S8_S8_T1_T2_lS8_S8_lT3_lS8_S8_lS9_T4_lS8_S8_l ; -- Begin function _ZN9rocsolver6v33100L16mfma_gemm_kernelI19rocblas_complex_numIdEiS3_PS3_S4_PKS4_EEv18rocblas_operation_S7_T0_S8_S8_T1_T2_lS8_S8_lT3_lS8_S8_lS9_T4_lS8_S8_l
	.p2align	8
	.type	_ZN9rocsolver6v33100L16mfma_gemm_kernelI19rocblas_complex_numIdEiS3_PS3_S4_PKS4_EEv18rocblas_operation_S7_T0_S8_S8_T1_T2_lS8_S8_lT3_lS8_S8_lS9_T4_lS8_S8_l,@function
_ZN9rocsolver6v33100L16mfma_gemm_kernelI19rocblas_complex_numIdEiS3_PS3_S4_PKS4_EEv18rocblas_operation_S7_T0_S8_S8_T1_T2_lS8_S8_lT3_lS8_S8_lS9_T4_lS8_S8_l: ; @_ZN9rocsolver6v33100L16mfma_gemm_kernelI19rocblas_complex_numIdEiS3_PS3_S4_PKS4_EEv18rocblas_operation_S7_T0_S8_S8_T1_T2_lS8_S8_lT3_lS8_S8_lS9_T4_lS8_S8_l
; %bb.0:
	s_endpgm
	.section	.rodata,"a",@progbits
	.p2align	6, 0x0
	.amdhsa_kernel _ZN9rocsolver6v33100L16mfma_gemm_kernelI19rocblas_complex_numIdEiS3_PS3_S4_PKS4_EEv18rocblas_operation_S7_T0_S8_S8_T1_T2_lS8_S8_lT3_lS8_S8_lS9_T4_lS8_S8_l
		.amdhsa_group_segment_fixed_size 0
		.amdhsa_private_segment_fixed_size 0
		.amdhsa_kernarg_size 152
		.amdhsa_user_sgpr_count 6
		.amdhsa_user_sgpr_private_segment_buffer 1
		.amdhsa_user_sgpr_dispatch_ptr 0
		.amdhsa_user_sgpr_queue_ptr 0
		.amdhsa_user_sgpr_kernarg_segment_ptr 1
		.amdhsa_user_sgpr_dispatch_id 0
		.amdhsa_user_sgpr_flat_scratch_init 0
		.amdhsa_user_sgpr_private_segment_size 0
		.amdhsa_uses_dynamic_stack 0
		.amdhsa_system_sgpr_private_segment_wavefront_offset 0
		.amdhsa_system_sgpr_workgroup_id_x 1
		.amdhsa_system_sgpr_workgroup_id_y 0
		.amdhsa_system_sgpr_workgroup_id_z 0
		.amdhsa_system_sgpr_workgroup_info 0
		.amdhsa_system_vgpr_workitem_id 0
		.amdhsa_next_free_vgpr 1
		.amdhsa_next_free_sgpr 0
		.amdhsa_reserve_vcc 0
		.amdhsa_reserve_flat_scratch 0
		.amdhsa_float_round_mode_32 0
		.amdhsa_float_round_mode_16_64 0
		.amdhsa_float_denorm_mode_32 3
		.amdhsa_float_denorm_mode_16_64 3
		.amdhsa_dx10_clamp 1
		.amdhsa_ieee_mode 1
		.amdhsa_fp16_overflow 0
		.amdhsa_exception_fp_ieee_invalid_op 0
		.amdhsa_exception_fp_denorm_src 0
		.amdhsa_exception_fp_ieee_div_zero 0
		.amdhsa_exception_fp_ieee_overflow 0
		.amdhsa_exception_fp_ieee_underflow 0
		.amdhsa_exception_fp_ieee_inexact 0
		.amdhsa_exception_int_div_zero 0
	.end_amdhsa_kernel
	.section	.text._ZN9rocsolver6v33100L16mfma_gemm_kernelI19rocblas_complex_numIdEiS3_PS3_S4_PKS4_EEv18rocblas_operation_S7_T0_S8_S8_T1_T2_lS8_S8_lT3_lS8_S8_lS9_T4_lS8_S8_l,"axG",@progbits,_ZN9rocsolver6v33100L16mfma_gemm_kernelI19rocblas_complex_numIdEiS3_PS3_S4_PKS4_EEv18rocblas_operation_S7_T0_S8_S8_T1_T2_lS8_S8_lT3_lS8_S8_lS9_T4_lS8_S8_l,comdat
.Lfunc_end30:
	.size	_ZN9rocsolver6v33100L16mfma_gemm_kernelI19rocblas_complex_numIdEiS3_PS3_S4_PKS4_EEv18rocblas_operation_S7_T0_S8_S8_T1_T2_lS8_S8_lT3_lS8_S8_lS9_T4_lS8_S8_l, .Lfunc_end30-_ZN9rocsolver6v33100L16mfma_gemm_kernelI19rocblas_complex_numIdEiS3_PS3_S4_PKS4_EEv18rocblas_operation_S7_T0_S8_S8_T1_T2_lS8_S8_lT3_lS8_S8_lS9_T4_lS8_S8_l
                                        ; -- End function
	.set _ZN9rocsolver6v33100L16mfma_gemm_kernelI19rocblas_complex_numIdEiS3_PS3_S4_PKS4_EEv18rocblas_operation_S7_T0_S8_S8_T1_T2_lS8_S8_lT3_lS8_S8_lS9_T4_lS8_S8_l.num_vgpr, 0
	.set _ZN9rocsolver6v33100L16mfma_gemm_kernelI19rocblas_complex_numIdEiS3_PS3_S4_PKS4_EEv18rocblas_operation_S7_T0_S8_S8_T1_T2_lS8_S8_lT3_lS8_S8_lS9_T4_lS8_S8_l.num_agpr, 0
	.set _ZN9rocsolver6v33100L16mfma_gemm_kernelI19rocblas_complex_numIdEiS3_PS3_S4_PKS4_EEv18rocblas_operation_S7_T0_S8_S8_T1_T2_lS8_S8_lT3_lS8_S8_lS9_T4_lS8_S8_l.numbered_sgpr, 0
	.set _ZN9rocsolver6v33100L16mfma_gemm_kernelI19rocblas_complex_numIdEiS3_PS3_S4_PKS4_EEv18rocblas_operation_S7_T0_S8_S8_T1_T2_lS8_S8_lT3_lS8_S8_lS9_T4_lS8_S8_l.num_named_barrier, 0
	.set _ZN9rocsolver6v33100L16mfma_gemm_kernelI19rocblas_complex_numIdEiS3_PS3_S4_PKS4_EEv18rocblas_operation_S7_T0_S8_S8_T1_T2_lS8_S8_lT3_lS8_S8_lS9_T4_lS8_S8_l.private_seg_size, 0
	.set _ZN9rocsolver6v33100L16mfma_gemm_kernelI19rocblas_complex_numIdEiS3_PS3_S4_PKS4_EEv18rocblas_operation_S7_T0_S8_S8_T1_T2_lS8_S8_lT3_lS8_S8_lS9_T4_lS8_S8_l.uses_vcc, 0
	.set _ZN9rocsolver6v33100L16mfma_gemm_kernelI19rocblas_complex_numIdEiS3_PS3_S4_PKS4_EEv18rocblas_operation_S7_T0_S8_S8_T1_T2_lS8_S8_lT3_lS8_S8_lS9_T4_lS8_S8_l.uses_flat_scratch, 0
	.set _ZN9rocsolver6v33100L16mfma_gemm_kernelI19rocblas_complex_numIdEiS3_PS3_S4_PKS4_EEv18rocblas_operation_S7_T0_S8_S8_T1_T2_lS8_S8_lT3_lS8_S8_lS9_T4_lS8_S8_l.has_dyn_sized_stack, 0
	.set _ZN9rocsolver6v33100L16mfma_gemm_kernelI19rocblas_complex_numIdEiS3_PS3_S4_PKS4_EEv18rocblas_operation_S7_T0_S8_S8_T1_T2_lS8_S8_lT3_lS8_S8_lS9_T4_lS8_S8_l.has_recursion, 0
	.set _ZN9rocsolver6v33100L16mfma_gemm_kernelI19rocblas_complex_numIdEiS3_PS3_S4_PKS4_EEv18rocblas_operation_S7_T0_S8_S8_T1_T2_lS8_S8_lT3_lS8_S8_lS9_T4_lS8_S8_l.has_indirect_call, 0
	.section	.AMDGPU.csdata,"",@progbits
; Kernel info:
; codeLenInByte = 4
; TotalNumSgprs: 4
; NumVgprs: 0
; ScratchSize: 0
; MemoryBound: 0
; FloatMode: 240
; IeeeMode: 1
; LDSByteSize: 0 bytes/workgroup (compile time only)
; SGPRBlocks: 0
; VGPRBlocks: 0
; NumSGPRsForWavesPerEU: 4
; NumVGPRsForWavesPerEU: 1
; Occupancy: 10
; WaveLimiterHint : 0
; COMPUTE_PGM_RSRC2:SCRATCH_EN: 0
; COMPUTE_PGM_RSRC2:USER_SGPR: 6
; COMPUTE_PGM_RSRC2:TRAP_HANDLER: 0
; COMPUTE_PGM_RSRC2:TGID_X_EN: 1
; COMPUTE_PGM_RSRC2:TGID_Y_EN: 0
; COMPUTE_PGM_RSRC2:TGID_Z_EN: 0
; COMPUTE_PGM_RSRC2:TIDIG_COMP_CNT: 0
	.section	.text._ZN9rocsolver6v33100L11gemm_kernelI19rocblas_complex_numIdEiPKS3_PS3_S6_PKS6_EEvT0_S9_S9_T1_bT2_lS9_S9_lbT3_lS9_S9_lSA_T4_lS9_S9_l,"axG",@progbits,_ZN9rocsolver6v33100L11gemm_kernelI19rocblas_complex_numIdEiPKS3_PS3_S6_PKS6_EEvT0_S9_S9_T1_bT2_lS9_S9_lbT3_lS9_S9_lSA_T4_lS9_S9_l,comdat
	.globl	_ZN9rocsolver6v33100L11gemm_kernelI19rocblas_complex_numIdEiPKS3_PS3_S6_PKS6_EEvT0_S9_S9_T1_bT2_lS9_S9_lbT3_lS9_S9_lSA_T4_lS9_S9_l ; -- Begin function _ZN9rocsolver6v33100L11gemm_kernelI19rocblas_complex_numIdEiPKS3_PS3_S6_PKS6_EEvT0_S9_S9_T1_bT2_lS9_S9_lbT3_lS9_S9_lSA_T4_lS9_S9_l
	.p2align	8
	.type	_ZN9rocsolver6v33100L11gemm_kernelI19rocblas_complex_numIdEiPKS3_PS3_S6_PKS6_EEvT0_S9_S9_T1_bT2_lS9_S9_lbT3_lS9_S9_lSA_T4_lS9_S9_l,@function
_ZN9rocsolver6v33100L11gemm_kernelI19rocblas_complex_numIdEiPKS3_PS3_S6_PKS6_EEvT0_S9_S9_T1_bT2_lS9_S9_lbT3_lS9_S9_lSA_T4_lS9_S9_l: ; @_ZN9rocsolver6v33100L11gemm_kernelI19rocblas_complex_numIdEiPKS3_PS3_S6_PKS6_EEvT0_S9_S9_T1_bT2_lS9_S9_lbT3_lS9_S9_lSA_T4_lS9_S9_l
; %bb.0:
	s_load_dword s0, s[4:5], 0x9c
	s_load_dwordx4 s[28:31], s[4:5], 0x0
	s_waitcnt lgkmcnt(0)
	s_lshr_b32 s1, s0, 16
	s_and_b32 s0, s0, 0xffff
	s_mul_i32 s6, s6, s0
	s_mul_i32 s7, s7, s1
	v_add_u32_e32 v9, s6, v0
	v_add_u32_e32 v8, s7, v1
	v_cmp_gt_i32_e32 vcc, s28, v9
	v_cmp_gt_i32_e64 s[0:1], s29, v8
	s_and_b64 s[0:1], vcc, s[0:1]
	s_and_saveexec_b64 s[2:3], s[0:1]
	s_cbranch_execz .LBB31_6
; %bb.1:
	s_load_dwordx8 s[12:19], s[4:5], 0x60
	s_load_dwordx2 s[28:29], s[4:5], 0x10
	s_ashr_i32 s9, s8, 31
	s_lshl_b64 s[0:1], s[8:9], 3
	s_waitcnt lgkmcnt(0)
	s_add_u32 s0, s16, s0
	s_addc_u32 s1, s17, s1
	s_load_dwordx2 s[6:7], s[0:1], 0x0
	s_cmp_lt_i32 s30, 1
	s_cbranch_scc1 .LBB31_4
; %bb.2:
	s_load_dword s0, s[4:5], 0x18
	s_load_dwordx8 s[20:27], s[4:5], 0x20
	s_load_dword s1, s[4:5], 0x40
	s_load_dwordx4 s[36:39], s[4:5], 0x48
	s_load_dwordx2 s[16:17], s[4:5], 0x58
	s_waitcnt lgkmcnt(0)
	s_bitcmp1_b32 s0, 0
	s_cselect_b64 vcc, -1, 0
	s_bitcmp1_b32 s1, 0
	s_mul_i32 s2, s26, s9
	s_mul_hi_u32 s3, s26, s8
	s_cselect_b64 s[0:1], -1, 0
	v_mul_lo_u32 v0, v9, s24
	s_add_i32 s2, s3, s2
	s_mul_i32 s3, s27, s8
	s_add_i32 s3, s2, s3
	s_mul_i32 s2, s26, s8
	s_lshl_b64 s[2:3], s[2:3], 4
	s_lshl_b64 s[10:11], s[22:23], 4
	s_add_u32 s2, s2, s10
	s_addc_u32 s3, s3, s11
	v_ashrrev_i32_e32 v1, 31, v0
	v_lshlrev_b64 v[0:1], 4, v[0:1]
	s_add_u32 s2, s20, s2
	s_addc_u32 s3, s21, s3
	v_mov_b32_e32 v3, s3
	v_add_co_u32_e64 v0, s[2:3], s2, v0
	v_addc_co_u32_e64 v1, s[2:3], v3, v1, s[2:3]
	v_add_co_u32_e64 v4, s[2:3], 8, v0
	v_addc_co_u32_e64 v5, s[2:3], 0, v1, s[2:3]
	s_ashr_i32 s3, s25, 31
	s_mov_b32 s2, s25
	s_lshl_b64 s[10:11], s[2:3], 4
	s_mul_i32 s2, s12, s9
	s_mul_hi_u32 s3, s12, s8
	v_mul_lo_u32 v2, v8, s17
	s_add_i32 s2, s3, s2
	s_mul_i32 s3, s13, s8
	s_add_i32 s3, s2, s3
	s_mul_i32 s2, s12, s8
	s_lshl_b64 s[2:3], s[2:3], 4
	s_lshl_b64 s[8:9], s[38:39], 4
	s_add_u32 s2, s2, s8
	s_addc_u32 s3, s3, s9
	v_ashrrev_i32_e32 v3, 31, v2
	v_lshlrev_b64 v[0:1], 4, v[2:3]
	s_add_u32 s2, s36, s2
	s_addc_u32 s3, s37, s3
	v_mov_b32_e32 v2, s3
	v_add_co_u32_e64 v0, s[2:3], s2, v0
	v_addc_co_u32_e64 v1, s[2:3], v2, v1, s[2:3]
	v_add_co_u32_e64 v6, s[2:3], 8, v0
	s_ashr_i32 s17, s16, 31
	v_addc_co_u32_e64 v7, s[2:3], 0, v1, s[2:3]
	s_lshl_b64 s[8:9], s[16:17], 4
	v_mov_b32_e32 v0, 0
	v_mov_b32_e32 v2, 0
	;; [unrolled: 1-line block ×6, first 2 shown]
.LBB31_3:                               ; =>This Inner Loop Header: Depth=1
	global_load_dwordx4 v[12:15], v[4:5], off offset:-8
	global_load_dwordx4 v[16:19], v[6:7], off offset:-8
	v_add_co_u32_e64 v4, s[2:3], s10, v4
	v_addc_co_u32_e64 v5, s[2:3], v5, v10, s[2:3]
	s_add_i32 s30, s30, -1
	v_add_co_u32_e64 v6, s[2:3], s8, v6
	s_cmp_eq_u32 s30, 0
	v_addc_co_u32_e64 v7, s[2:3], v7, v11, s[2:3]
	s_waitcnt vmcnt(1)
	v_xor_b32_e32 v20, 0x80000000, v15
	s_waitcnt vmcnt(0)
	v_xor_b32_e32 v21, 0x80000000, v19
	v_cndmask_b32_e32 v15, v15, v20, vcc
	v_cndmask_b32_e64 v19, v19, v21, s[0:1]
	v_mul_f64 v[20:21], v[14:15], v[18:19]
	v_mul_f64 v[14:15], v[14:15], v[16:17]
	v_fma_f64 v[20:21], v[12:13], v[16:17], -v[20:21]
	v_fma_f64 v[12:13], v[12:13], v[18:19], v[14:15]
	v_add_f64 v[2:3], v[2:3], v[20:21]
	v_add_f64 v[0:1], v[0:1], v[12:13]
	s_cbranch_scc0 .LBB31_3
	s_branch .LBB31_5
.LBB31_4:
	v_mov_b32_e32 v0, 0
	v_mov_b32_e32 v2, 0
	;; [unrolled: 1-line block ×4, first 2 shown]
.LBB31_5:
	s_load_dwordx4 s[8:11], s[28:29], 0x0
	s_load_dwordx4 s[0:3], s[14:15], 0x0
                                        ; kill: killed $sgpr28_sgpr29
                                        ; kill: killed $sgpr14_sgpr15
	s_nop 0
	s_load_dwordx2 s[4:5], s[4:5], 0x80
	s_lshl_b64 s[12:13], s[18:19], 4
	s_waitcnt lgkmcnt(0)
	v_mul_f64 v[10:11], s[10:11], v[0:1]
	v_mul_f64 v[0:1], s[8:9], v[0:1]
	v_mul_lo_u32 v4, v9, s4
	v_mad_u64_u32 v[4:5], s[4:5], v8, s5, v[4:5]
	s_add_u32 s4, s6, s12
	s_addc_u32 s5, s7, s13
	v_ashrrev_i32_e32 v5, 31, v4
	v_lshlrev_b64 v[4:5], 4, v[4:5]
	v_mov_b32_e32 v6, s5
	v_add_co_u32_e32 v8, vcc, s4, v4
	v_addc_co_u32_e32 v9, vcc, v6, v5, vcc
	flat_load_dwordx4 v[4:7], v[8:9]
	v_fma_f64 v[10:11], s[8:9], v[2:3], -v[10:11]
	v_fma_f64 v[2:3], s[10:11], v[2:3], v[0:1]
	s_waitcnt vmcnt(0) lgkmcnt(0)
	v_mul_f64 v[12:13], s[2:3], v[6:7]
	v_mul_f64 v[6:7], s[0:1], v[6:7]
	v_fma_f64 v[0:1], s[0:1], v[4:5], -v[12:13]
	v_fma_f64 v[4:5], s[2:3], v[4:5], v[6:7]
	v_add_f64 v[0:1], v[10:11], v[0:1]
	v_add_f64 v[2:3], v[2:3], v[4:5]
	flat_store_dwordx4 v[8:9], v[0:3]
.LBB31_6:
	s_endpgm
	.section	.rodata,"a",@progbits
	.p2align	6, 0x0
	.amdhsa_kernel _ZN9rocsolver6v33100L11gemm_kernelI19rocblas_complex_numIdEiPKS3_PS3_S6_PKS6_EEvT0_S9_S9_T1_bT2_lS9_S9_lbT3_lS9_S9_lSA_T4_lS9_S9_l
		.amdhsa_group_segment_fixed_size 0
		.amdhsa_private_segment_fixed_size 0
		.amdhsa_kernarg_size 400
		.amdhsa_user_sgpr_count 6
		.amdhsa_user_sgpr_private_segment_buffer 1
		.amdhsa_user_sgpr_dispatch_ptr 0
		.amdhsa_user_sgpr_queue_ptr 0
		.amdhsa_user_sgpr_kernarg_segment_ptr 1
		.amdhsa_user_sgpr_dispatch_id 0
		.amdhsa_user_sgpr_flat_scratch_init 0
		.amdhsa_user_sgpr_private_segment_size 0
		.amdhsa_uses_dynamic_stack 0
		.amdhsa_system_sgpr_private_segment_wavefront_offset 0
		.amdhsa_system_sgpr_workgroup_id_x 1
		.amdhsa_system_sgpr_workgroup_id_y 1
		.amdhsa_system_sgpr_workgroup_id_z 1
		.amdhsa_system_sgpr_workgroup_info 0
		.amdhsa_system_vgpr_workitem_id 1
		.amdhsa_next_free_vgpr 22
		.amdhsa_next_free_sgpr 40
		.amdhsa_reserve_vcc 1
		.amdhsa_reserve_flat_scratch 0
		.amdhsa_float_round_mode_32 0
		.amdhsa_float_round_mode_16_64 0
		.amdhsa_float_denorm_mode_32 3
		.amdhsa_float_denorm_mode_16_64 3
		.amdhsa_dx10_clamp 1
		.amdhsa_ieee_mode 1
		.amdhsa_fp16_overflow 0
		.amdhsa_exception_fp_ieee_invalid_op 0
		.amdhsa_exception_fp_denorm_src 0
		.amdhsa_exception_fp_ieee_div_zero 0
		.amdhsa_exception_fp_ieee_overflow 0
		.amdhsa_exception_fp_ieee_underflow 0
		.amdhsa_exception_fp_ieee_inexact 0
		.amdhsa_exception_int_div_zero 0
	.end_amdhsa_kernel
	.section	.text._ZN9rocsolver6v33100L11gemm_kernelI19rocblas_complex_numIdEiPKS3_PS3_S6_PKS6_EEvT0_S9_S9_T1_bT2_lS9_S9_lbT3_lS9_S9_lSA_T4_lS9_S9_l,"axG",@progbits,_ZN9rocsolver6v33100L11gemm_kernelI19rocblas_complex_numIdEiPKS3_PS3_S6_PKS6_EEvT0_S9_S9_T1_bT2_lS9_S9_lbT3_lS9_S9_lSA_T4_lS9_S9_l,comdat
.Lfunc_end31:
	.size	_ZN9rocsolver6v33100L11gemm_kernelI19rocblas_complex_numIdEiPKS3_PS3_S6_PKS6_EEvT0_S9_S9_T1_bT2_lS9_S9_lbT3_lS9_S9_lSA_T4_lS9_S9_l, .Lfunc_end31-_ZN9rocsolver6v33100L11gemm_kernelI19rocblas_complex_numIdEiPKS3_PS3_S6_PKS6_EEvT0_S9_S9_T1_bT2_lS9_S9_lbT3_lS9_S9_lSA_T4_lS9_S9_l
                                        ; -- End function
	.set _ZN9rocsolver6v33100L11gemm_kernelI19rocblas_complex_numIdEiPKS3_PS3_S6_PKS6_EEvT0_S9_S9_T1_bT2_lS9_S9_lbT3_lS9_S9_lSA_T4_lS9_S9_l.num_vgpr, 22
	.set _ZN9rocsolver6v33100L11gemm_kernelI19rocblas_complex_numIdEiPKS3_PS3_S6_PKS6_EEvT0_S9_S9_T1_bT2_lS9_S9_lbT3_lS9_S9_lSA_T4_lS9_S9_l.num_agpr, 0
	.set _ZN9rocsolver6v33100L11gemm_kernelI19rocblas_complex_numIdEiPKS3_PS3_S6_PKS6_EEvT0_S9_S9_T1_bT2_lS9_S9_lbT3_lS9_S9_lSA_T4_lS9_S9_l.numbered_sgpr, 40
	.set _ZN9rocsolver6v33100L11gemm_kernelI19rocblas_complex_numIdEiPKS3_PS3_S6_PKS6_EEvT0_S9_S9_T1_bT2_lS9_S9_lbT3_lS9_S9_lSA_T4_lS9_S9_l.num_named_barrier, 0
	.set _ZN9rocsolver6v33100L11gemm_kernelI19rocblas_complex_numIdEiPKS3_PS3_S6_PKS6_EEvT0_S9_S9_T1_bT2_lS9_S9_lbT3_lS9_S9_lSA_T4_lS9_S9_l.private_seg_size, 0
	.set _ZN9rocsolver6v33100L11gemm_kernelI19rocblas_complex_numIdEiPKS3_PS3_S6_PKS6_EEvT0_S9_S9_T1_bT2_lS9_S9_lbT3_lS9_S9_lSA_T4_lS9_S9_l.uses_vcc, 1
	.set _ZN9rocsolver6v33100L11gemm_kernelI19rocblas_complex_numIdEiPKS3_PS3_S6_PKS6_EEvT0_S9_S9_T1_bT2_lS9_S9_lbT3_lS9_S9_lSA_T4_lS9_S9_l.uses_flat_scratch, 0
	.set _ZN9rocsolver6v33100L11gemm_kernelI19rocblas_complex_numIdEiPKS3_PS3_S6_PKS6_EEvT0_S9_S9_T1_bT2_lS9_S9_lbT3_lS9_S9_lSA_T4_lS9_S9_l.has_dyn_sized_stack, 0
	.set _ZN9rocsolver6v33100L11gemm_kernelI19rocblas_complex_numIdEiPKS3_PS3_S6_PKS6_EEvT0_S9_S9_T1_bT2_lS9_S9_lbT3_lS9_S9_lSA_T4_lS9_S9_l.has_recursion, 0
	.set _ZN9rocsolver6v33100L11gemm_kernelI19rocblas_complex_numIdEiPKS3_PS3_S6_PKS6_EEvT0_S9_S9_T1_bT2_lS9_S9_lbT3_lS9_S9_lSA_T4_lS9_S9_l.has_indirect_call, 0
	.section	.AMDGPU.csdata,"",@progbits
; Kernel info:
; codeLenInByte = 788
; TotalNumSgprs: 44
; NumVgprs: 22
; ScratchSize: 0
; MemoryBound: 0
; FloatMode: 240
; IeeeMode: 1
; LDSByteSize: 0 bytes/workgroup (compile time only)
; SGPRBlocks: 5
; VGPRBlocks: 5
; NumSGPRsForWavesPerEU: 44
; NumVGPRsForWavesPerEU: 22
; Occupancy: 10
; WaveLimiterHint : 1
; COMPUTE_PGM_RSRC2:SCRATCH_EN: 0
; COMPUTE_PGM_RSRC2:USER_SGPR: 6
; COMPUTE_PGM_RSRC2:TRAP_HANDLER: 0
; COMPUTE_PGM_RSRC2:TGID_X_EN: 1
; COMPUTE_PGM_RSRC2:TGID_Y_EN: 1
; COMPUTE_PGM_RSRC2:TGID_Z_EN: 1
; COMPUTE_PGM_RSRC2:TIDIG_COMP_CNT: 1
	.section	.text._ZN9rocsolver6v33100L11gemm_kernelI19rocblas_complex_numIdEiS3_PS3_S4_PKS4_EEvT0_S7_S7_T1_bT2_lS7_S7_lbT3_lS7_S7_lS8_T4_lS7_S7_l,"axG",@progbits,_ZN9rocsolver6v33100L11gemm_kernelI19rocblas_complex_numIdEiS3_PS3_S4_PKS4_EEvT0_S7_S7_T1_bT2_lS7_S7_lbT3_lS7_S7_lS8_T4_lS7_S7_l,comdat
	.globl	_ZN9rocsolver6v33100L11gemm_kernelI19rocblas_complex_numIdEiS3_PS3_S4_PKS4_EEvT0_S7_S7_T1_bT2_lS7_S7_lbT3_lS7_S7_lS8_T4_lS7_S7_l ; -- Begin function _ZN9rocsolver6v33100L11gemm_kernelI19rocblas_complex_numIdEiS3_PS3_S4_PKS4_EEvT0_S7_S7_T1_bT2_lS7_S7_lbT3_lS7_S7_lS8_T4_lS7_S7_l
	.p2align	8
	.type	_ZN9rocsolver6v33100L11gemm_kernelI19rocblas_complex_numIdEiS3_PS3_S4_PKS4_EEvT0_S7_S7_T1_bT2_lS7_S7_lbT3_lS7_S7_lS8_T4_lS7_S7_l,@function
_ZN9rocsolver6v33100L11gemm_kernelI19rocblas_complex_numIdEiS3_PS3_S4_PKS4_EEvT0_S7_S7_T1_bT2_lS7_S7_lbT3_lS7_S7_lS8_T4_lS7_S7_l: ; @_ZN9rocsolver6v33100L11gemm_kernelI19rocblas_complex_numIdEiS3_PS3_S4_PKS4_EEvT0_S7_S7_T1_bT2_lS7_S7_lbT3_lS7_S7_lS8_T4_lS7_S7_l
; %bb.0:
	s_load_dword s0, s[4:5], 0xac
	s_load_dwordx4 s[28:31], s[4:5], 0x0
	s_waitcnt lgkmcnt(0)
	s_lshr_b32 s1, s0, 16
	s_and_b32 s0, s0, 0xffff
	s_mul_i32 s6, s6, s0
	s_mul_i32 s7, s7, s1
	v_add_u32_e32 v9, s6, v0
	v_add_u32_e32 v8, s7, v1
	v_cmp_gt_i32_e32 vcc, s28, v9
	v_cmp_gt_i32_e64 s[0:1], s29, v8
	s_and_b64 s[0:1], vcc, s[0:1]
	s_and_saveexec_b64 s[2:3], s[0:1]
	s_cbranch_execz .LBB32_6
; %bb.1:
	s_load_dwordx8 s[12:19], s[4:5], 0x68
	s_load_dwordx2 s[6:7], s[4:5], 0x88
	s_ashr_i32 s9, s8, 31
	s_lshl_b64 s[0:1], s[8:9], 3
	s_waitcnt lgkmcnt(0)
	s_add_u32 s0, s18, s0
	s_addc_u32 s1, s19, s1
	s_load_dwordx2 s[10:11], s[0:1], 0x0
	s_cmp_lt_i32 s30, 1
	s_cbranch_scc1 .LBB32_4
; %bb.2:
	s_load_dword s0, s[4:5], 0x20
	s_load_dwordx8 s[20:27], s[4:5], 0x28
	s_load_dword s1, s[4:5], 0x48
	s_load_dwordx4 s[36:39], s[4:5], 0x50
	s_load_dwordx2 s[28:29], s[4:5], 0x60
	s_waitcnt lgkmcnt(0)
	s_bitcmp1_b32 s0, 0
	s_cselect_b64 vcc, -1, 0
	s_bitcmp1_b32 s1, 0
	s_mul_i32 s2, s26, s9
	s_mul_hi_u32 s3, s26, s8
	s_cselect_b64 s[0:1], -1, 0
	v_mul_lo_u32 v0, v9, s24
	s_add_i32 s2, s3, s2
	s_mul_i32 s3, s27, s8
	s_add_i32 s3, s2, s3
	s_mul_i32 s2, s26, s8
	s_lshl_b64 s[2:3], s[2:3], 4
	s_lshl_b64 s[18:19], s[22:23], 4
	s_add_u32 s2, s2, s18
	s_addc_u32 s3, s3, s19
	v_ashrrev_i32_e32 v1, 31, v0
	v_lshlrev_b64 v[0:1], 4, v[0:1]
	s_add_u32 s2, s20, s2
	s_addc_u32 s3, s21, s3
	v_mov_b32_e32 v3, s3
	v_add_co_u32_e64 v0, s[2:3], s2, v0
	v_addc_co_u32_e64 v1, s[2:3], v3, v1, s[2:3]
	v_add_co_u32_e64 v4, s[2:3], 8, v0
	v_addc_co_u32_e64 v5, s[2:3], 0, v1, s[2:3]
	s_ashr_i32 s3, s25, 31
	s_mov_b32 s2, s25
	s_lshl_b64 s[18:19], s[2:3], 4
	s_mul_i32 s2, s12, s9
	s_mul_hi_u32 s3, s12, s8
	v_mul_lo_u32 v2, v8, s29
	s_add_i32 s2, s3, s2
	s_mul_i32 s3, s13, s8
	s_add_i32 s3, s2, s3
	s_mul_i32 s2, s12, s8
	s_lshl_b64 s[2:3], s[2:3], 4
	s_lshl_b64 s[8:9], s[38:39], 4
	s_add_u32 s2, s2, s8
	s_addc_u32 s3, s3, s9
	v_ashrrev_i32_e32 v3, 31, v2
	v_lshlrev_b64 v[0:1], 4, v[2:3]
	s_add_u32 s2, s36, s2
	s_addc_u32 s3, s37, s3
	v_mov_b32_e32 v2, s3
	v_add_co_u32_e64 v0, s[2:3], s2, v0
	v_addc_co_u32_e64 v1, s[2:3], v2, v1, s[2:3]
	v_add_co_u32_e64 v6, s[2:3], 8, v0
	s_ashr_i32 s29, s28, 31
	v_addc_co_u32_e64 v7, s[2:3], 0, v1, s[2:3]
	s_lshl_b64 s[8:9], s[28:29], 4
	v_mov_b32_e32 v0, 0
	v_mov_b32_e32 v2, 0
	;; [unrolled: 1-line block ×6, first 2 shown]
.LBB32_3:                               ; =>This Inner Loop Header: Depth=1
	global_load_dwordx4 v[12:15], v[4:5], off offset:-8
	global_load_dwordx4 v[16:19], v[6:7], off offset:-8
	v_add_co_u32_e64 v4, s[2:3], s18, v4
	v_addc_co_u32_e64 v5, s[2:3], v5, v10, s[2:3]
	s_add_i32 s30, s30, -1
	v_add_co_u32_e64 v6, s[2:3], s8, v6
	s_cmp_eq_u32 s30, 0
	v_addc_co_u32_e64 v7, s[2:3], v7, v11, s[2:3]
	s_waitcnt vmcnt(1)
	v_xor_b32_e32 v20, 0x80000000, v15
	s_waitcnt vmcnt(0)
	v_xor_b32_e32 v21, 0x80000000, v19
	v_cndmask_b32_e32 v15, v15, v20, vcc
	v_cndmask_b32_e64 v19, v19, v21, s[0:1]
	v_mul_f64 v[20:21], v[14:15], v[18:19]
	v_mul_f64 v[14:15], v[14:15], v[16:17]
	v_fma_f64 v[20:21], v[12:13], v[16:17], -v[20:21]
	v_fma_f64 v[12:13], v[12:13], v[18:19], v[14:15]
	v_add_f64 v[2:3], v[2:3], v[20:21]
	v_add_f64 v[0:1], v[0:1], v[12:13]
	s_cbranch_scc0 .LBB32_3
	s_branch .LBB32_5
.LBB32_4:
	v_mov_b32_e32 v0, 0
	v_mov_b32_e32 v2, 0
	v_mov_b32_e32 v1, 0
	v_mov_b32_e32 v3, 0
.LBB32_5:
	s_load_dwordx4 s[0:3], s[4:5], 0x10
	s_nop 0
	s_load_dwordx2 s[4:5], s[4:5], 0x90
	s_lshl_b64 s[6:7], s[6:7], 4
	s_waitcnt lgkmcnt(0)
	v_mul_f64 v[10:11], s[2:3], v[0:1]
	v_mul_lo_u32 v4, v9, s4
	v_mul_f64 v[0:1], s[0:1], v[0:1]
	v_mad_u64_u32 v[4:5], s[4:5], v8, s5, v[4:5]
	s_add_u32 s4, s10, s6
	s_addc_u32 s5, s11, s7
	v_ashrrev_i32_e32 v5, 31, v4
	v_lshlrev_b64 v[4:5], 4, v[4:5]
	v_mov_b32_e32 v6, s5
	v_add_co_u32_e32 v8, vcc, s4, v4
	v_addc_co_u32_e32 v9, vcc, v6, v5, vcc
	flat_load_dwordx4 v[4:7], v[8:9]
	v_fma_f64 v[10:11], s[0:1], v[2:3], -v[10:11]
	v_fma_f64 v[2:3], s[2:3], v[2:3], v[0:1]
	s_waitcnt vmcnt(0) lgkmcnt(0)
	v_mul_f64 v[12:13], s[16:17], v[6:7]
	v_mul_f64 v[6:7], s[14:15], v[6:7]
	v_fma_f64 v[0:1], s[14:15], v[4:5], -v[12:13]
	v_fma_f64 v[4:5], s[16:17], v[4:5], v[6:7]
	v_add_f64 v[0:1], v[10:11], v[0:1]
	v_add_f64 v[2:3], v[2:3], v[4:5]
	flat_store_dwordx4 v[8:9], v[0:3]
.LBB32_6:
	s_endpgm
	.section	.rodata,"a",@progbits
	.p2align	6, 0x0
	.amdhsa_kernel _ZN9rocsolver6v33100L11gemm_kernelI19rocblas_complex_numIdEiS3_PS3_S4_PKS4_EEvT0_S7_S7_T1_bT2_lS7_S7_lbT3_lS7_S7_lS8_T4_lS7_S7_l
		.amdhsa_group_segment_fixed_size 0
		.amdhsa_private_segment_fixed_size 0
		.amdhsa_kernarg_size 416
		.amdhsa_user_sgpr_count 6
		.amdhsa_user_sgpr_private_segment_buffer 1
		.amdhsa_user_sgpr_dispatch_ptr 0
		.amdhsa_user_sgpr_queue_ptr 0
		.amdhsa_user_sgpr_kernarg_segment_ptr 1
		.amdhsa_user_sgpr_dispatch_id 0
		.amdhsa_user_sgpr_flat_scratch_init 0
		.amdhsa_user_sgpr_private_segment_size 0
		.amdhsa_uses_dynamic_stack 0
		.amdhsa_system_sgpr_private_segment_wavefront_offset 0
		.amdhsa_system_sgpr_workgroup_id_x 1
		.amdhsa_system_sgpr_workgroup_id_y 1
		.amdhsa_system_sgpr_workgroup_id_z 1
		.amdhsa_system_sgpr_workgroup_info 0
		.amdhsa_system_vgpr_workitem_id 1
		.amdhsa_next_free_vgpr 22
		.amdhsa_next_free_sgpr 40
		.amdhsa_reserve_vcc 1
		.amdhsa_reserve_flat_scratch 0
		.amdhsa_float_round_mode_32 0
		.amdhsa_float_round_mode_16_64 0
		.amdhsa_float_denorm_mode_32 3
		.amdhsa_float_denorm_mode_16_64 3
		.amdhsa_dx10_clamp 1
		.amdhsa_ieee_mode 1
		.amdhsa_fp16_overflow 0
		.amdhsa_exception_fp_ieee_invalid_op 0
		.amdhsa_exception_fp_denorm_src 0
		.amdhsa_exception_fp_ieee_div_zero 0
		.amdhsa_exception_fp_ieee_overflow 0
		.amdhsa_exception_fp_ieee_underflow 0
		.amdhsa_exception_fp_ieee_inexact 0
		.amdhsa_exception_int_div_zero 0
	.end_amdhsa_kernel
	.section	.text._ZN9rocsolver6v33100L11gemm_kernelI19rocblas_complex_numIdEiS3_PS3_S4_PKS4_EEvT0_S7_S7_T1_bT2_lS7_S7_lbT3_lS7_S7_lS8_T4_lS7_S7_l,"axG",@progbits,_ZN9rocsolver6v33100L11gemm_kernelI19rocblas_complex_numIdEiS3_PS3_S4_PKS4_EEvT0_S7_S7_T1_bT2_lS7_S7_lbT3_lS7_S7_lS8_T4_lS7_S7_l,comdat
.Lfunc_end32:
	.size	_ZN9rocsolver6v33100L11gemm_kernelI19rocblas_complex_numIdEiS3_PS3_S4_PKS4_EEvT0_S7_S7_T1_bT2_lS7_S7_lbT3_lS7_S7_lS8_T4_lS7_S7_l, .Lfunc_end32-_ZN9rocsolver6v33100L11gemm_kernelI19rocblas_complex_numIdEiS3_PS3_S4_PKS4_EEvT0_S7_S7_T1_bT2_lS7_S7_lbT3_lS7_S7_lS8_T4_lS7_S7_l
                                        ; -- End function
	.set _ZN9rocsolver6v33100L11gemm_kernelI19rocblas_complex_numIdEiS3_PS3_S4_PKS4_EEvT0_S7_S7_T1_bT2_lS7_S7_lbT3_lS7_S7_lS8_T4_lS7_S7_l.num_vgpr, 22
	.set _ZN9rocsolver6v33100L11gemm_kernelI19rocblas_complex_numIdEiS3_PS3_S4_PKS4_EEvT0_S7_S7_T1_bT2_lS7_S7_lbT3_lS7_S7_lS8_T4_lS7_S7_l.num_agpr, 0
	.set _ZN9rocsolver6v33100L11gemm_kernelI19rocblas_complex_numIdEiS3_PS3_S4_PKS4_EEvT0_S7_S7_T1_bT2_lS7_S7_lbT3_lS7_S7_lS8_T4_lS7_S7_l.numbered_sgpr, 40
	.set _ZN9rocsolver6v33100L11gemm_kernelI19rocblas_complex_numIdEiS3_PS3_S4_PKS4_EEvT0_S7_S7_T1_bT2_lS7_S7_lbT3_lS7_S7_lS8_T4_lS7_S7_l.num_named_barrier, 0
	.set _ZN9rocsolver6v33100L11gemm_kernelI19rocblas_complex_numIdEiS3_PS3_S4_PKS4_EEvT0_S7_S7_T1_bT2_lS7_S7_lbT3_lS7_S7_lS8_T4_lS7_S7_l.private_seg_size, 0
	.set _ZN9rocsolver6v33100L11gemm_kernelI19rocblas_complex_numIdEiS3_PS3_S4_PKS4_EEvT0_S7_S7_T1_bT2_lS7_S7_lbT3_lS7_S7_lS8_T4_lS7_S7_l.uses_vcc, 1
	.set _ZN9rocsolver6v33100L11gemm_kernelI19rocblas_complex_numIdEiS3_PS3_S4_PKS4_EEvT0_S7_S7_T1_bT2_lS7_S7_lbT3_lS7_S7_lS8_T4_lS7_S7_l.uses_flat_scratch, 0
	.set _ZN9rocsolver6v33100L11gemm_kernelI19rocblas_complex_numIdEiS3_PS3_S4_PKS4_EEvT0_S7_S7_T1_bT2_lS7_S7_lbT3_lS7_S7_lS8_T4_lS7_S7_l.has_dyn_sized_stack, 0
	.set _ZN9rocsolver6v33100L11gemm_kernelI19rocblas_complex_numIdEiS3_PS3_S4_PKS4_EEvT0_S7_S7_T1_bT2_lS7_S7_lbT3_lS7_S7_lS8_T4_lS7_S7_l.has_recursion, 0
	.set _ZN9rocsolver6v33100L11gemm_kernelI19rocblas_complex_numIdEiS3_PS3_S4_PKS4_EEvT0_S7_S7_T1_bT2_lS7_S7_lbT3_lS7_S7_lS8_T4_lS7_S7_l.has_indirect_call, 0
	.section	.AMDGPU.csdata,"",@progbits
; Kernel info:
; codeLenInByte = 780
; TotalNumSgprs: 44
; NumVgprs: 22
; ScratchSize: 0
; MemoryBound: 0
; FloatMode: 240
; IeeeMode: 1
; LDSByteSize: 0 bytes/workgroup (compile time only)
; SGPRBlocks: 5
; VGPRBlocks: 5
; NumSGPRsForWavesPerEU: 44
; NumVGPRsForWavesPerEU: 22
; Occupancy: 10
; WaveLimiterHint : 1
; COMPUTE_PGM_RSRC2:SCRATCH_EN: 0
; COMPUTE_PGM_RSRC2:USER_SGPR: 6
; COMPUTE_PGM_RSRC2:TRAP_HANDLER: 0
; COMPUTE_PGM_RSRC2:TGID_X_EN: 1
; COMPUTE_PGM_RSRC2:TGID_Y_EN: 1
; COMPUTE_PGM_RSRC2:TGID_Z_EN: 1
; COMPUTE_PGM_RSRC2:TIDIG_COMP_CNT: 1
	.section	.text._ZN9rocsolver6v33100L16mfma_gemm_kernelI19rocblas_complex_numIdElPKS3_PS3_S6_S6_EEv18rocblas_operation_S7_T0_S8_S8_T1_T2_lS8_S8_lT3_lS8_S8_lS9_T4_lS8_S8_l,"axG",@progbits,_ZN9rocsolver6v33100L16mfma_gemm_kernelI19rocblas_complex_numIdElPKS3_PS3_S6_S6_EEv18rocblas_operation_S7_T0_S8_S8_T1_T2_lS8_S8_lT3_lS8_S8_lS9_T4_lS8_S8_l,comdat
	.globl	_ZN9rocsolver6v33100L16mfma_gemm_kernelI19rocblas_complex_numIdElPKS3_PS3_S6_S6_EEv18rocblas_operation_S7_T0_S8_S8_T1_T2_lS8_S8_lT3_lS8_S8_lS9_T4_lS8_S8_l ; -- Begin function _ZN9rocsolver6v33100L16mfma_gemm_kernelI19rocblas_complex_numIdElPKS3_PS3_S6_S6_EEv18rocblas_operation_S7_T0_S8_S8_T1_T2_lS8_S8_lT3_lS8_S8_lS9_T4_lS8_S8_l
	.p2align	8
	.type	_ZN9rocsolver6v33100L16mfma_gemm_kernelI19rocblas_complex_numIdElPKS3_PS3_S6_S6_EEv18rocblas_operation_S7_T0_S8_S8_T1_T2_lS8_S8_lT3_lS8_S8_lS9_T4_lS8_S8_l,@function
_ZN9rocsolver6v33100L16mfma_gemm_kernelI19rocblas_complex_numIdElPKS3_PS3_S6_S6_EEv18rocblas_operation_S7_T0_S8_S8_T1_T2_lS8_S8_lT3_lS8_S8_lS9_T4_lS8_S8_l: ; @_ZN9rocsolver6v33100L16mfma_gemm_kernelI19rocblas_complex_numIdElPKS3_PS3_S6_S6_EEv18rocblas_operation_S7_T0_S8_S8_T1_T2_lS8_S8_lT3_lS8_S8_lS9_T4_lS8_S8_l
; %bb.0:
	s_endpgm
	.section	.rodata,"a",@progbits
	.p2align	6, 0x0
	.amdhsa_kernel _ZN9rocsolver6v33100L16mfma_gemm_kernelI19rocblas_complex_numIdElPKS3_PS3_S6_S6_EEv18rocblas_operation_S7_T0_S8_S8_T1_T2_lS8_S8_lT3_lS8_S8_lS9_T4_lS8_S8_l
		.amdhsa_group_segment_fixed_size 0
		.amdhsa_private_segment_fixed_size 0
		.amdhsa_kernarg_size 168
		.amdhsa_user_sgpr_count 6
		.amdhsa_user_sgpr_private_segment_buffer 1
		.amdhsa_user_sgpr_dispatch_ptr 0
		.amdhsa_user_sgpr_queue_ptr 0
		.amdhsa_user_sgpr_kernarg_segment_ptr 1
		.amdhsa_user_sgpr_dispatch_id 0
		.amdhsa_user_sgpr_flat_scratch_init 0
		.amdhsa_user_sgpr_private_segment_size 0
		.amdhsa_uses_dynamic_stack 0
		.amdhsa_system_sgpr_private_segment_wavefront_offset 0
		.amdhsa_system_sgpr_workgroup_id_x 1
		.amdhsa_system_sgpr_workgroup_id_y 0
		.amdhsa_system_sgpr_workgroup_id_z 0
		.amdhsa_system_sgpr_workgroup_info 0
		.amdhsa_system_vgpr_workitem_id 0
		.amdhsa_next_free_vgpr 1
		.amdhsa_next_free_sgpr 0
		.amdhsa_reserve_vcc 0
		.amdhsa_reserve_flat_scratch 0
		.amdhsa_float_round_mode_32 0
		.amdhsa_float_round_mode_16_64 0
		.amdhsa_float_denorm_mode_32 3
		.amdhsa_float_denorm_mode_16_64 3
		.amdhsa_dx10_clamp 1
		.amdhsa_ieee_mode 1
		.amdhsa_fp16_overflow 0
		.amdhsa_exception_fp_ieee_invalid_op 0
		.amdhsa_exception_fp_denorm_src 0
		.amdhsa_exception_fp_ieee_div_zero 0
		.amdhsa_exception_fp_ieee_overflow 0
		.amdhsa_exception_fp_ieee_underflow 0
		.amdhsa_exception_fp_ieee_inexact 0
		.amdhsa_exception_int_div_zero 0
	.end_amdhsa_kernel
	.section	.text._ZN9rocsolver6v33100L16mfma_gemm_kernelI19rocblas_complex_numIdElPKS3_PS3_S6_S6_EEv18rocblas_operation_S7_T0_S8_S8_T1_T2_lS8_S8_lT3_lS8_S8_lS9_T4_lS8_S8_l,"axG",@progbits,_ZN9rocsolver6v33100L16mfma_gemm_kernelI19rocblas_complex_numIdElPKS3_PS3_S6_S6_EEv18rocblas_operation_S7_T0_S8_S8_T1_T2_lS8_S8_lT3_lS8_S8_lS9_T4_lS8_S8_l,comdat
.Lfunc_end33:
	.size	_ZN9rocsolver6v33100L16mfma_gemm_kernelI19rocblas_complex_numIdElPKS3_PS3_S6_S6_EEv18rocblas_operation_S7_T0_S8_S8_T1_T2_lS8_S8_lT3_lS8_S8_lS9_T4_lS8_S8_l, .Lfunc_end33-_ZN9rocsolver6v33100L16mfma_gemm_kernelI19rocblas_complex_numIdElPKS3_PS3_S6_S6_EEv18rocblas_operation_S7_T0_S8_S8_T1_T2_lS8_S8_lT3_lS8_S8_lS9_T4_lS8_S8_l
                                        ; -- End function
	.set _ZN9rocsolver6v33100L16mfma_gemm_kernelI19rocblas_complex_numIdElPKS3_PS3_S6_S6_EEv18rocblas_operation_S7_T0_S8_S8_T1_T2_lS8_S8_lT3_lS8_S8_lS9_T4_lS8_S8_l.num_vgpr, 0
	.set _ZN9rocsolver6v33100L16mfma_gemm_kernelI19rocblas_complex_numIdElPKS3_PS3_S6_S6_EEv18rocblas_operation_S7_T0_S8_S8_T1_T2_lS8_S8_lT3_lS8_S8_lS9_T4_lS8_S8_l.num_agpr, 0
	.set _ZN9rocsolver6v33100L16mfma_gemm_kernelI19rocblas_complex_numIdElPKS3_PS3_S6_S6_EEv18rocblas_operation_S7_T0_S8_S8_T1_T2_lS8_S8_lT3_lS8_S8_lS9_T4_lS8_S8_l.numbered_sgpr, 0
	.set _ZN9rocsolver6v33100L16mfma_gemm_kernelI19rocblas_complex_numIdElPKS3_PS3_S6_S6_EEv18rocblas_operation_S7_T0_S8_S8_T1_T2_lS8_S8_lT3_lS8_S8_lS9_T4_lS8_S8_l.num_named_barrier, 0
	.set _ZN9rocsolver6v33100L16mfma_gemm_kernelI19rocblas_complex_numIdElPKS3_PS3_S6_S6_EEv18rocblas_operation_S7_T0_S8_S8_T1_T2_lS8_S8_lT3_lS8_S8_lS9_T4_lS8_S8_l.private_seg_size, 0
	.set _ZN9rocsolver6v33100L16mfma_gemm_kernelI19rocblas_complex_numIdElPKS3_PS3_S6_S6_EEv18rocblas_operation_S7_T0_S8_S8_T1_T2_lS8_S8_lT3_lS8_S8_lS9_T4_lS8_S8_l.uses_vcc, 0
	.set _ZN9rocsolver6v33100L16mfma_gemm_kernelI19rocblas_complex_numIdElPKS3_PS3_S6_S6_EEv18rocblas_operation_S7_T0_S8_S8_T1_T2_lS8_S8_lT3_lS8_S8_lS9_T4_lS8_S8_l.uses_flat_scratch, 0
	.set _ZN9rocsolver6v33100L16mfma_gemm_kernelI19rocblas_complex_numIdElPKS3_PS3_S6_S6_EEv18rocblas_operation_S7_T0_S8_S8_T1_T2_lS8_S8_lT3_lS8_S8_lS9_T4_lS8_S8_l.has_dyn_sized_stack, 0
	.set _ZN9rocsolver6v33100L16mfma_gemm_kernelI19rocblas_complex_numIdElPKS3_PS3_S6_S6_EEv18rocblas_operation_S7_T0_S8_S8_T1_T2_lS8_S8_lT3_lS8_S8_lS9_T4_lS8_S8_l.has_recursion, 0
	.set _ZN9rocsolver6v33100L16mfma_gemm_kernelI19rocblas_complex_numIdElPKS3_PS3_S6_S6_EEv18rocblas_operation_S7_T0_S8_S8_T1_T2_lS8_S8_lT3_lS8_S8_lS9_T4_lS8_S8_l.has_indirect_call, 0
	.section	.AMDGPU.csdata,"",@progbits
; Kernel info:
; codeLenInByte = 4
; TotalNumSgprs: 4
; NumVgprs: 0
; ScratchSize: 0
; MemoryBound: 0
; FloatMode: 240
; IeeeMode: 1
; LDSByteSize: 0 bytes/workgroup (compile time only)
; SGPRBlocks: 0
; VGPRBlocks: 0
; NumSGPRsForWavesPerEU: 4
; NumVGPRsForWavesPerEU: 1
; Occupancy: 10
; WaveLimiterHint : 0
; COMPUTE_PGM_RSRC2:SCRATCH_EN: 0
; COMPUTE_PGM_RSRC2:USER_SGPR: 6
; COMPUTE_PGM_RSRC2:TRAP_HANDLER: 0
; COMPUTE_PGM_RSRC2:TGID_X_EN: 1
; COMPUTE_PGM_RSRC2:TGID_Y_EN: 0
; COMPUTE_PGM_RSRC2:TGID_Z_EN: 0
; COMPUTE_PGM_RSRC2:TIDIG_COMP_CNT: 0
	.section	.text._ZN9rocsolver6v33100L16mfma_gemm_kernelI19rocblas_complex_numIdElS3_PS3_S4_S4_EEv18rocblas_operation_S5_T0_S6_S6_T1_T2_lS6_S6_lT3_lS6_S6_lS7_T4_lS6_S6_l,"axG",@progbits,_ZN9rocsolver6v33100L16mfma_gemm_kernelI19rocblas_complex_numIdElS3_PS3_S4_S4_EEv18rocblas_operation_S5_T0_S6_S6_T1_T2_lS6_S6_lT3_lS6_S6_lS7_T4_lS6_S6_l,comdat
	.globl	_ZN9rocsolver6v33100L16mfma_gemm_kernelI19rocblas_complex_numIdElS3_PS3_S4_S4_EEv18rocblas_operation_S5_T0_S6_S6_T1_T2_lS6_S6_lT3_lS6_S6_lS7_T4_lS6_S6_l ; -- Begin function _ZN9rocsolver6v33100L16mfma_gemm_kernelI19rocblas_complex_numIdElS3_PS3_S4_S4_EEv18rocblas_operation_S5_T0_S6_S6_T1_T2_lS6_S6_lT3_lS6_S6_lS7_T4_lS6_S6_l
	.p2align	8
	.type	_ZN9rocsolver6v33100L16mfma_gemm_kernelI19rocblas_complex_numIdElS3_PS3_S4_S4_EEv18rocblas_operation_S5_T0_S6_S6_T1_T2_lS6_S6_lT3_lS6_S6_lS7_T4_lS6_S6_l,@function
_ZN9rocsolver6v33100L16mfma_gemm_kernelI19rocblas_complex_numIdElS3_PS3_S4_S4_EEv18rocblas_operation_S5_T0_S6_S6_T1_T2_lS6_S6_lT3_lS6_S6_lS7_T4_lS6_S6_l: ; @_ZN9rocsolver6v33100L16mfma_gemm_kernelI19rocblas_complex_numIdElS3_PS3_S4_S4_EEv18rocblas_operation_S5_T0_S6_S6_T1_T2_lS6_S6_lT3_lS6_S6_lS7_T4_lS6_S6_l
; %bb.0:
	s_endpgm
	.section	.rodata,"a",@progbits
	.p2align	6, 0x0
	.amdhsa_kernel _ZN9rocsolver6v33100L16mfma_gemm_kernelI19rocblas_complex_numIdElS3_PS3_S4_S4_EEv18rocblas_operation_S5_T0_S6_S6_T1_T2_lS6_S6_lT3_lS6_S6_lS7_T4_lS6_S6_l
		.amdhsa_group_segment_fixed_size 0
		.amdhsa_private_segment_fixed_size 0
		.amdhsa_kernarg_size 184
		.amdhsa_user_sgpr_count 6
		.amdhsa_user_sgpr_private_segment_buffer 1
		.amdhsa_user_sgpr_dispatch_ptr 0
		.amdhsa_user_sgpr_queue_ptr 0
		.amdhsa_user_sgpr_kernarg_segment_ptr 1
		.amdhsa_user_sgpr_dispatch_id 0
		.amdhsa_user_sgpr_flat_scratch_init 0
		.amdhsa_user_sgpr_private_segment_size 0
		.amdhsa_uses_dynamic_stack 0
		.amdhsa_system_sgpr_private_segment_wavefront_offset 0
		.amdhsa_system_sgpr_workgroup_id_x 1
		.amdhsa_system_sgpr_workgroup_id_y 0
		.amdhsa_system_sgpr_workgroup_id_z 0
		.amdhsa_system_sgpr_workgroup_info 0
		.amdhsa_system_vgpr_workitem_id 0
		.amdhsa_next_free_vgpr 1
		.amdhsa_next_free_sgpr 0
		.amdhsa_reserve_vcc 0
		.amdhsa_reserve_flat_scratch 0
		.amdhsa_float_round_mode_32 0
		.amdhsa_float_round_mode_16_64 0
		.amdhsa_float_denorm_mode_32 3
		.amdhsa_float_denorm_mode_16_64 3
		.amdhsa_dx10_clamp 1
		.amdhsa_ieee_mode 1
		.amdhsa_fp16_overflow 0
		.amdhsa_exception_fp_ieee_invalid_op 0
		.amdhsa_exception_fp_denorm_src 0
		.amdhsa_exception_fp_ieee_div_zero 0
		.amdhsa_exception_fp_ieee_overflow 0
		.amdhsa_exception_fp_ieee_underflow 0
		.amdhsa_exception_fp_ieee_inexact 0
		.amdhsa_exception_int_div_zero 0
	.end_amdhsa_kernel
	.section	.text._ZN9rocsolver6v33100L16mfma_gemm_kernelI19rocblas_complex_numIdElS3_PS3_S4_S4_EEv18rocblas_operation_S5_T0_S6_S6_T1_T2_lS6_S6_lT3_lS6_S6_lS7_T4_lS6_S6_l,"axG",@progbits,_ZN9rocsolver6v33100L16mfma_gemm_kernelI19rocblas_complex_numIdElS3_PS3_S4_S4_EEv18rocblas_operation_S5_T0_S6_S6_T1_T2_lS6_S6_lT3_lS6_S6_lS7_T4_lS6_S6_l,comdat
.Lfunc_end34:
	.size	_ZN9rocsolver6v33100L16mfma_gemm_kernelI19rocblas_complex_numIdElS3_PS3_S4_S4_EEv18rocblas_operation_S5_T0_S6_S6_T1_T2_lS6_S6_lT3_lS6_S6_lS7_T4_lS6_S6_l, .Lfunc_end34-_ZN9rocsolver6v33100L16mfma_gemm_kernelI19rocblas_complex_numIdElS3_PS3_S4_S4_EEv18rocblas_operation_S5_T0_S6_S6_T1_T2_lS6_S6_lT3_lS6_S6_lS7_T4_lS6_S6_l
                                        ; -- End function
	.set _ZN9rocsolver6v33100L16mfma_gemm_kernelI19rocblas_complex_numIdElS3_PS3_S4_S4_EEv18rocblas_operation_S5_T0_S6_S6_T1_T2_lS6_S6_lT3_lS6_S6_lS7_T4_lS6_S6_l.num_vgpr, 0
	.set _ZN9rocsolver6v33100L16mfma_gemm_kernelI19rocblas_complex_numIdElS3_PS3_S4_S4_EEv18rocblas_operation_S5_T0_S6_S6_T1_T2_lS6_S6_lT3_lS6_S6_lS7_T4_lS6_S6_l.num_agpr, 0
	.set _ZN9rocsolver6v33100L16mfma_gemm_kernelI19rocblas_complex_numIdElS3_PS3_S4_S4_EEv18rocblas_operation_S5_T0_S6_S6_T1_T2_lS6_S6_lT3_lS6_S6_lS7_T4_lS6_S6_l.numbered_sgpr, 0
	.set _ZN9rocsolver6v33100L16mfma_gemm_kernelI19rocblas_complex_numIdElS3_PS3_S4_S4_EEv18rocblas_operation_S5_T0_S6_S6_T1_T2_lS6_S6_lT3_lS6_S6_lS7_T4_lS6_S6_l.num_named_barrier, 0
	.set _ZN9rocsolver6v33100L16mfma_gemm_kernelI19rocblas_complex_numIdElS3_PS3_S4_S4_EEv18rocblas_operation_S5_T0_S6_S6_T1_T2_lS6_S6_lT3_lS6_S6_lS7_T4_lS6_S6_l.private_seg_size, 0
	.set _ZN9rocsolver6v33100L16mfma_gemm_kernelI19rocblas_complex_numIdElS3_PS3_S4_S4_EEv18rocblas_operation_S5_T0_S6_S6_T1_T2_lS6_S6_lT3_lS6_S6_lS7_T4_lS6_S6_l.uses_vcc, 0
	.set _ZN9rocsolver6v33100L16mfma_gemm_kernelI19rocblas_complex_numIdElS3_PS3_S4_S4_EEv18rocblas_operation_S5_T0_S6_S6_T1_T2_lS6_S6_lT3_lS6_S6_lS7_T4_lS6_S6_l.uses_flat_scratch, 0
	.set _ZN9rocsolver6v33100L16mfma_gemm_kernelI19rocblas_complex_numIdElS3_PS3_S4_S4_EEv18rocblas_operation_S5_T0_S6_S6_T1_T2_lS6_S6_lT3_lS6_S6_lS7_T4_lS6_S6_l.has_dyn_sized_stack, 0
	.set _ZN9rocsolver6v33100L16mfma_gemm_kernelI19rocblas_complex_numIdElS3_PS3_S4_S4_EEv18rocblas_operation_S5_T0_S6_S6_T1_T2_lS6_S6_lT3_lS6_S6_lS7_T4_lS6_S6_l.has_recursion, 0
	.set _ZN9rocsolver6v33100L16mfma_gemm_kernelI19rocblas_complex_numIdElS3_PS3_S4_S4_EEv18rocblas_operation_S5_T0_S6_S6_T1_T2_lS6_S6_lT3_lS6_S6_lS7_T4_lS6_S6_l.has_indirect_call, 0
	.section	.AMDGPU.csdata,"",@progbits
; Kernel info:
; codeLenInByte = 4
; TotalNumSgprs: 4
; NumVgprs: 0
; ScratchSize: 0
; MemoryBound: 0
; FloatMode: 240
; IeeeMode: 1
; LDSByteSize: 0 bytes/workgroup (compile time only)
; SGPRBlocks: 0
; VGPRBlocks: 0
; NumSGPRsForWavesPerEU: 4
; NumVGPRsForWavesPerEU: 1
; Occupancy: 10
; WaveLimiterHint : 0
; COMPUTE_PGM_RSRC2:SCRATCH_EN: 0
; COMPUTE_PGM_RSRC2:USER_SGPR: 6
; COMPUTE_PGM_RSRC2:TRAP_HANDLER: 0
; COMPUTE_PGM_RSRC2:TGID_X_EN: 1
; COMPUTE_PGM_RSRC2:TGID_Y_EN: 0
; COMPUTE_PGM_RSRC2:TGID_Z_EN: 0
; COMPUTE_PGM_RSRC2:TIDIG_COMP_CNT: 0
	.section	.text._ZN9rocsolver6v33100L11gemm_kernelI19rocblas_complex_numIdElPKS3_PS3_S6_S6_EEvT0_S7_S7_T1_bT2_lS7_S7_lbT3_lS7_S7_lS8_T4_lS7_S7_l,"axG",@progbits,_ZN9rocsolver6v33100L11gemm_kernelI19rocblas_complex_numIdElPKS3_PS3_S6_S6_EEvT0_S7_S7_T1_bT2_lS7_S7_lbT3_lS7_S7_lS8_T4_lS7_S7_l,comdat
	.globl	_ZN9rocsolver6v33100L11gemm_kernelI19rocblas_complex_numIdElPKS3_PS3_S6_S6_EEvT0_S7_S7_T1_bT2_lS7_S7_lbT3_lS7_S7_lS8_T4_lS7_S7_l ; -- Begin function _ZN9rocsolver6v33100L11gemm_kernelI19rocblas_complex_numIdElPKS3_PS3_S6_S6_EEvT0_S7_S7_T1_bT2_lS7_S7_lbT3_lS7_S7_lS8_T4_lS7_S7_l
	.p2align	8
	.type	_ZN9rocsolver6v33100L11gemm_kernelI19rocblas_complex_numIdElPKS3_PS3_S6_S6_EEvT0_S7_S7_T1_bT2_lS7_S7_lbT3_lS7_S7_lS8_T4_lS7_S7_l,@function
_ZN9rocsolver6v33100L11gemm_kernelI19rocblas_complex_numIdElPKS3_PS3_S6_S6_EEvT0_S7_S7_T1_bT2_lS7_S7_lbT3_lS7_S7_lS8_T4_lS7_S7_l: ; @_ZN9rocsolver6v33100L11gemm_kernelI19rocblas_complex_numIdElPKS3_PS3_S6_S6_EEvT0_S7_S7_T1_bT2_lS7_S7_lbT3_lS7_S7_lS8_T4_lS7_S7_l
; %bb.0:
	s_load_dword s0, s[4:5], 0xbc
	s_load_dwordx8 s[24:31], s[4:5], 0x0
	v_mov_b32_e32 v2, v0
	v_mov_b32_e32 v3, 0
	;; [unrolled: 1-line block ×3, first 2 shown]
	s_waitcnt lgkmcnt(0)
	s_lshr_b32 s2, s0, 16
	s_and_b32 s0, s0, 0xffff
	v_mad_u64_u32 v[4:5], s[0:1], s0, v0, v[2:3]
	v_mov_b32_e32 v2, v3
	v_mov_b32_e32 v0, s7
	v_mad_u64_u32 v[0:1], s[0:1], s2, v0, v[1:2]
	v_cmp_gt_i64_e32 vcc, s[24:25], v[4:5]
	v_cmp_gt_i64_e64 s[0:1], s[26:27], v[0:1]
	s_and_b64 s[0:1], vcc, s[0:1]
	s_and_saveexec_b64 s[2:3], s[0:1]
	s_cbranch_execz .LBB35_6
; %bb.1:
	s_load_dwordx16 s[12:27], s[4:5], 0x58
	v_cmp_lt_i64_e64 s[0:1], s[28:29], 1
	s_and_b64 vcc, exec, s[0:1]
	s_cbranch_vccnz .LBB35_4
; %bb.2:
	s_load_dword s0, s[4:5], 0x20
	s_load_dwordx8 s[36:43], s[4:5], 0x28
	s_load_dwordx2 s[2:3], s[4:5], 0x48
	s_load_dword s6, s[4:5], 0x50
	s_waitcnt lgkmcnt(0)
	v_mul_lo_u32 v10, s19, v0
	s_bitcmp1_b32 s0, 0
	v_mul_lo_u32 v6, s41, v4
	v_mul_lo_u32 v7, s40, v5
	v_mad_u64_u32 v[2:3], s[0:1], s40, v4, 0
	s_cselect_b64 vcc, -1, 0
	s_bitcmp1_b32 s6, 0
	s_mul_i32 s3, s3, s8
	s_mul_hi_u32 s6, s2, s8
	s_cselect_b64 s[0:1], -1, 0
	s_add_i32 s3, s6, s3
	s_mul_i32 s2, s2, s8
	s_lshl_b64 s[2:3], s[2:3], 4
	s_lshl_b64 s[6:7], s[38:39], 4
	s_add_u32 s6, s36, s6
	v_add3_u32 v3, v3, v7, v6
	s_addc_u32 s7, s37, s7
	v_lshlrev_b64 v[2:3], 4, v[2:3]
	s_add_u32 s2, s6, s2
	s_addc_u32 s3, s7, s3
	v_mov_b32_e32 v6, s3
	v_add_co_u32_e64 v7, s[2:3], s2, v2
	v_addc_co_u32_e64 v6, s[2:3], v6, v3, s[2:3]
	v_mad_u64_u32 v[2:3], s[2:3], s18, v0, 0
	v_add_co_u32_e64 v8, s[2:3], 8, v7
	v_addc_co_u32_e64 v9, s[2:3], 0, v6, s[2:3]
	v_mul_lo_u32 v11, s18, v1
	s_mul_i32 s2, s21, s8
	s_mul_hi_u32 s3, s20, s8
	s_add_i32 s3, s3, s2
	s_mul_i32 s2, s20, s8
	s_lshl_b64 s[10:11], s[42:43], 4
	s_lshl_b64 s[2:3], s[2:3], 4
	;; [unrolled: 1-line block ×3, first 2 shown]
	s_add_u32 s6, s12, s6
	v_add3_u32 v3, v3, v11, v10
	s_addc_u32 s7, s13, s7
	v_lshlrev_b64 v[2:3], 4, v[2:3]
	s_add_u32 s2, s6, s2
	s_addc_u32 s3, s7, s3
	v_mov_b32_e32 v6, s3
	v_add_co_u32_e64 v2, s[2:3], s2, v2
	v_addc_co_u32_e64 v3, s[2:3], v6, v3, s[2:3]
	v_add_co_u32_e64 v10, s[2:3], 8, v2
	v_addc_co_u32_e64 v11, s[2:3], 0, v3, s[2:3]
	s_lshl_b64 s[12:13], s[16:17], 4
	v_mov_b32_e32 v2, 0
	v_mov_b32_e32 v6, 0
	;; [unrolled: 1-line block ×6, first 2 shown]
.LBB35_3:                               ; =>This Inner Loop Header: Depth=1
	global_load_dwordx4 v[14:17], v[8:9], off offset:-8
	global_load_dwordx4 v[18:21], v[10:11], off offset:-8
	s_add_u32 s28, s28, -1
	v_add_co_u32_e64 v10, s[2:3], s12, v10
	v_add_co_u32_e64 v8, s[6:7], s10, v8
	s_addc_u32 s29, s29, -1
	v_addc_co_u32_e64 v9, s[6:7], v9, v12, s[6:7]
	s_cmp_eq_u64 s[28:29], 0
	v_addc_co_u32_e64 v11, s[2:3], v11, v13, s[2:3]
	s_waitcnt vmcnt(1)
	v_xor_b32_e32 v22, 0x80000000, v17
	s_waitcnt vmcnt(0)
	v_xor_b32_e32 v23, 0x80000000, v21
	v_cndmask_b32_e32 v17, v17, v22, vcc
	v_cndmask_b32_e64 v21, v21, v23, s[0:1]
	v_mul_f64 v[22:23], v[16:17], v[20:21]
	v_mul_f64 v[16:17], v[16:17], v[18:19]
	v_fma_f64 v[18:19], v[14:15], v[18:19], -v[22:23]
	v_fma_f64 v[14:15], v[14:15], v[20:21], v[16:17]
	v_add_f64 v[6:7], v[6:7], v[18:19]
	v_add_f64 v[2:3], v[2:3], v[14:15]
	s_cbranch_scc0 .LBB35_3
	s_branch .LBB35_5
.LBB35_4:
	v_mov_b32_e32 v2, 0
	v_mov_b32_e32 v6, 0
	;; [unrolled: 1-line block ×4, first 2 shown]
.LBB35_5:
	s_waitcnt lgkmcnt(0)
	s_load_dwordx4 s[12:15], s[30:31], 0x0
	s_load_dwordx4 s[0:3], s[22:23], 0x0
                                        ; kill: killed $sgpr30_sgpr31
                                        ; kill: killed $sgpr22_sgpr23
	s_load_dwordx2 s[6:7], s[4:5], 0xa8
	s_load_dwordx4 s[16:19], s[4:5], 0x98
	s_waitcnt lgkmcnt(0)
	s_mul_i32 s5, s7, s8
	s_mul_hi_u32 s7, s6, s8
	s_mul_i32 s4, s6, s8
	s_add_i32 s5, s7, s5
	v_mul_lo_u32 v8, v5, s16
	v_mul_lo_u32 v9, v4, s17
	v_mad_u64_u32 v[4:5], s[6:7], v4, s16, 0
	s_lshl_b64 s[4:5], s[4:5], 4
	v_mul_lo_u32 v10, v1, s18
	v_mul_lo_u32 v11, v0, s19
	v_mad_u64_u32 v[0:1], s[6:7], v0, s18, 0
	s_add_u32 s8, s24, s4
	s_addc_u32 s9, s25, s5
	s_lshl_b64 s[4:5], s[26:27], 4
	v_add3_u32 v5, v5, v9, v8
	s_add_u32 s4, s8, s4
	v_lshlrev_b64 v[4:5], 4, v[4:5]
	s_addc_u32 s5, s9, s5
	v_add3_u32 v1, v1, v11, v10
	v_mov_b32_e32 v8, s5
	v_add_co_u32_e32 v4, vcc, s4, v4
	v_lshlrev_b64 v[0:1], 4, v[0:1]
	v_addc_co_u32_e32 v5, vcc, v8, v5, vcc
	v_add_co_u32_e32 v4, vcc, v4, v0
	v_addc_co_u32_e32 v5, vcc, v5, v1, vcc
	global_load_dwordx4 v[8:11], v[4:5], off
	v_mul_f64 v[0:1], s[14:15], v[2:3]
	v_mul_f64 v[2:3], s[12:13], v[2:3]
	v_fma_f64 v[0:1], s[12:13], v[6:7], -v[0:1]
	v_fma_f64 v[2:3], s[14:15], v[6:7], v[2:3]
	s_waitcnt vmcnt(0)
	v_mul_f64 v[12:13], s[2:3], v[10:11]
	v_mul_f64 v[10:11], s[0:1], v[10:11]
	v_fma_f64 v[6:7], s[0:1], v[8:9], -v[12:13]
	v_fma_f64 v[8:9], s[2:3], v[8:9], v[10:11]
	v_add_f64 v[0:1], v[0:1], v[6:7]
	v_add_f64 v[2:3], v[2:3], v[8:9]
	global_store_dwordx4 v[4:5], v[0:3], off
.LBB35_6:
	s_endpgm
	.section	.rodata,"a",@progbits
	.p2align	6, 0x0
	.amdhsa_kernel _ZN9rocsolver6v33100L11gemm_kernelI19rocblas_complex_numIdElPKS3_PS3_S6_S6_EEvT0_S7_S7_T1_bT2_lS7_S7_lbT3_lS7_S7_lS8_T4_lS7_S7_l
		.amdhsa_group_segment_fixed_size 0
		.amdhsa_private_segment_fixed_size 0
		.amdhsa_kernarg_size 432
		.amdhsa_user_sgpr_count 6
		.amdhsa_user_sgpr_private_segment_buffer 1
		.amdhsa_user_sgpr_dispatch_ptr 0
		.amdhsa_user_sgpr_queue_ptr 0
		.amdhsa_user_sgpr_kernarg_segment_ptr 1
		.amdhsa_user_sgpr_dispatch_id 0
		.amdhsa_user_sgpr_flat_scratch_init 0
		.amdhsa_user_sgpr_private_segment_size 0
		.amdhsa_uses_dynamic_stack 0
		.amdhsa_system_sgpr_private_segment_wavefront_offset 0
		.amdhsa_system_sgpr_workgroup_id_x 1
		.amdhsa_system_sgpr_workgroup_id_y 1
		.amdhsa_system_sgpr_workgroup_id_z 1
		.amdhsa_system_sgpr_workgroup_info 0
		.amdhsa_system_vgpr_workitem_id 1
		.amdhsa_next_free_vgpr 24
		.amdhsa_next_free_sgpr 44
		.amdhsa_reserve_vcc 1
		.amdhsa_reserve_flat_scratch 0
		.amdhsa_float_round_mode_32 0
		.amdhsa_float_round_mode_16_64 0
		.amdhsa_float_denorm_mode_32 3
		.amdhsa_float_denorm_mode_16_64 3
		.amdhsa_dx10_clamp 1
		.amdhsa_ieee_mode 1
		.amdhsa_fp16_overflow 0
		.amdhsa_exception_fp_ieee_invalid_op 0
		.amdhsa_exception_fp_denorm_src 0
		.amdhsa_exception_fp_ieee_div_zero 0
		.amdhsa_exception_fp_ieee_overflow 0
		.amdhsa_exception_fp_ieee_underflow 0
		.amdhsa_exception_fp_ieee_inexact 0
		.amdhsa_exception_int_div_zero 0
	.end_amdhsa_kernel
	.section	.text._ZN9rocsolver6v33100L11gemm_kernelI19rocblas_complex_numIdElPKS3_PS3_S6_S6_EEvT0_S7_S7_T1_bT2_lS7_S7_lbT3_lS7_S7_lS8_T4_lS7_S7_l,"axG",@progbits,_ZN9rocsolver6v33100L11gemm_kernelI19rocblas_complex_numIdElPKS3_PS3_S6_S6_EEvT0_S7_S7_T1_bT2_lS7_S7_lbT3_lS7_S7_lS8_T4_lS7_S7_l,comdat
.Lfunc_end35:
	.size	_ZN9rocsolver6v33100L11gemm_kernelI19rocblas_complex_numIdElPKS3_PS3_S6_S6_EEvT0_S7_S7_T1_bT2_lS7_S7_lbT3_lS7_S7_lS8_T4_lS7_S7_l, .Lfunc_end35-_ZN9rocsolver6v33100L11gemm_kernelI19rocblas_complex_numIdElPKS3_PS3_S6_S6_EEvT0_S7_S7_T1_bT2_lS7_S7_lbT3_lS7_S7_lS8_T4_lS7_S7_l
                                        ; -- End function
	.set _ZN9rocsolver6v33100L11gemm_kernelI19rocblas_complex_numIdElPKS3_PS3_S6_S6_EEvT0_S7_S7_T1_bT2_lS7_S7_lbT3_lS7_S7_lS8_T4_lS7_S7_l.num_vgpr, 24
	.set _ZN9rocsolver6v33100L11gemm_kernelI19rocblas_complex_numIdElPKS3_PS3_S6_S6_EEvT0_S7_S7_T1_bT2_lS7_S7_lbT3_lS7_S7_lS8_T4_lS7_S7_l.num_agpr, 0
	.set _ZN9rocsolver6v33100L11gemm_kernelI19rocblas_complex_numIdElPKS3_PS3_S6_S6_EEvT0_S7_S7_T1_bT2_lS7_S7_lbT3_lS7_S7_lS8_T4_lS7_S7_l.numbered_sgpr, 44
	.set _ZN9rocsolver6v33100L11gemm_kernelI19rocblas_complex_numIdElPKS3_PS3_S6_S6_EEvT0_S7_S7_T1_bT2_lS7_S7_lbT3_lS7_S7_lS8_T4_lS7_S7_l.num_named_barrier, 0
	.set _ZN9rocsolver6v33100L11gemm_kernelI19rocblas_complex_numIdElPKS3_PS3_S6_S6_EEvT0_S7_S7_T1_bT2_lS7_S7_lbT3_lS7_S7_lS8_T4_lS7_S7_l.private_seg_size, 0
	.set _ZN9rocsolver6v33100L11gemm_kernelI19rocblas_complex_numIdElPKS3_PS3_S6_S6_EEvT0_S7_S7_T1_bT2_lS7_S7_lbT3_lS7_S7_lS8_T4_lS7_S7_l.uses_vcc, 1
	.set _ZN9rocsolver6v33100L11gemm_kernelI19rocblas_complex_numIdElPKS3_PS3_S6_S6_EEvT0_S7_S7_T1_bT2_lS7_S7_lbT3_lS7_S7_lS8_T4_lS7_S7_l.uses_flat_scratch, 0
	.set _ZN9rocsolver6v33100L11gemm_kernelI19rocblas_complex_numIdElPKS3_PS3_S6_S6_EEvT0_S7_S7_T1_bT2_lS7_S7_lbT3_lS7_S7_lS8_T4_lS7_S7_l.has_dyn_sized_stack, 0
	.set _ZN9rocsolver6v33100L11gemm_kernelI19rocblas_complex_numIdElPKS3_PS3_S6_S6_EEvT0_S7_S7_T1_bT2_lS7_S7_lbT3_lS7_S7_lS8_T4_lS7_S7_l.has_recursion, 0
	.set _ZN9rocsolver6v33100L11gemm_kernelI19rocblas_complex_numIdElPKS3_PS3_S6_S6_EEvT0_S7_S7_T1_bT2_lS7_S7_lbT3_lS7_S7_lS8_T4_lS7_S7_l.has_indirect_call, 0
	.section	.AMDGPU.csdata,"",@progbits
; Kernel info:
; codeLenInByte = 884
; TotalNumSgprs: 48
; NumVgprs: 24
; ScratchSize: 0
; MemoryBound: 0
; FloatMode: 240
; IeeeMode: 1
; LDSByteSize: 0 bytes/workgroup (compile time only)
; SGPRBlocks: 5
; VGPRBlocks: 5
; NumSGPRsForWavesPerEU: 48
; NumVGPRsForWavesPerEU: 24
; Occupancy: 10
; WaveLimiterHint : 0
; COMPUTE_PGM_RSRC2:SCRATCH_EN: 0
; COMPUTE_PGM_RSRC2:USER_SGPR: 6
; COMPUTE_PGM_RSRC2:TRAP_HANDLER: 0
; COMPUTE_PGM_RSRC2:TGID_X_EN: 1
; COMPUTE_PGM_RSRC2:TGID_Y_EN: 1
; COMPUTE_PGM_RSRC2:TGID_Z_EN: 1
; COMPUTE_PGM_RSRC2:TIDIG_COMP_CNT: 1
	.section	.text._ZN9rocsolver6v33100L11gemm_kernelI19rocblas_complex_numIdElS3_PS3_S4_S4_EEvT0_S5_S5_T1_bT2_lS5_S5_lbT3_lS5_S5_lS6_T4_lS5_S5_l,"axG",@progbits,_ZN9rocsolver6v33100L11gemm_kernelI19rocblas_complex_numIdElS3_PS3_S4_S4_EEvT0_S5_S5_T1_bT2_lS5_S5_lbT3_lS5_S5_lS6_T4_lS5_S5_l,comdat
	.globl	_ZN9rocsolver6v33100L11gemm_kernelI19rocblas_complex_numIdElS3_PS3_S4_S4_EEvT0_S5_S5_T1_bT2_lS5_S5_lbT3_lS5_S5_lS6_T4_lS5_S5_l ; -- Begin function _ZN9rocsolver6v33100L11gemm_kernelI19rocblas_complex_numIdElS3_PS3_S4_S4_EEvT0_S5_S5_T1_bT2_lS5_S5_lbT3_lS5_S5_lS6_T4_lS5_S5_l
	.p2align	8
	.type	_ZN9rocsolver6v33100L11gemm_kernelI19rocblas_complex_numIdElS3_PS3_S4_S4_EEvT0_S5_S5_T1_bT2_lS5_S5_lbT3_lS5_S5_lS6_T4_lS5_S5_l,@function
_ZN9rocsolver6v33100L11gemm_kernelI19rocblas_complex_numIdElS3_PS3_S4_S4_EEvT0_S5_S5_T1_bT2_lS5_S5_lbT3_lS5_S5_lS6_T4_lS5_S5_l: ; @_ZN9rocsolver6v33100L11gemm_kernelI19rocblas_complex_numIdElS3_PS3_S4_S4_EEvT0_S5_S5_T1_bT2_lS5_S5_lbT3_lS5_S5_lS6_T4_lS5_S5_l
; %bb.0:
	s_load_dword s0, s[4:5], 0xcc
	s_load_dwordx8 s[24:31], s[4:5], 0x0
	v_mov_b32_e32 v2, v0
	v_mov_b32_e32 v3, 0
	;; [unrolled: 1-line block ×3, first 2 shown]
	s_waitcnt lgkmcnt(0)
	s_lshr_b32 s2, s0, 16
	s_and_b32 s0, s0, 0xffff
	v_mad_u64_u32 v[4:5], s[0:1], s0, v0, v[2:3]
	v_mov_b32_e32 v2, v3
	v_mov_b32_e32 v0, s7
	v_mad_u64_u32 v[0:1], s[0:1], s2, v0, v[1:2]
	v_cmp_gt_i64_e32 vcc, s[24:25], v[4:5]
	v_cmp_gt_i64_e64 s[0:1], s[26:27], v[0:1]
	s_and_b64 s[0:1], vcc, s[0:1]
	s_and_saveexec_b64 s[2:3], s[0:1]
	s_cbranch_execz .LBB36_6
; %bb.1:
	s_load_dwordx2 s[10:11], s[4:5], 0x20
	s_load_dwordx16 s[12:27], s[4:5], 0x60
	v_cmp_lt_i64_e64 s[0:1], s[28:29], 1
	s_and_b64 vcc, exec, s[0:1]
	s_cbranch_vccnz .LBB36_4
; %bb.2:
	s_load_dword s0, s[4:5], 0x28
	s_load_dwordx8 s[36:43], s[4:5], 0x30
	s_load_dwordx2 s[2:3], s[4:5], 0x50
	s_load_dword s6, s[4:5], 0x58
	s_waitcnt lgkmcnt(0)
	v_mul_lo_u32 v10, s19, v0
	s_bitcmp1_b32 s0, 0
	v_mul_lo_u32 v6, s41, v4
	v_mul_lo_u32 v7, s40, v5
	v_mad_u64_u32 v[2:3], s[0:1], s40, v4, 0
	s_cselect_b64 vcc, -1, 0
	s_bitcmp1_b32 s6, 0
	s_mul_i32 s3, s3, s8
	s_mul_hi_u32 s6, s2, s8
	s_cselect_b64 s[0:1], -1, 0
	s_add_i32 s3, s6, s3
	s_mul_i32 s2, s2, s8
	s_lshl_b64 s[2:3], s[2:3], 4
	s_lshl_b64 s[6:7], s[38:39], 4
	s_add_u32 s6, s36, s6
	v_add3_u32 v3, v3, v7, v6
	s_addc_u32 s7, s37, s7
	v_lshlrev_b64 v[2:3], 4, v[2:3]
	s_add_u32 s2, s6, s2
	s_addc_u32 s3, s7, s3
	v_mov_b32_e32 v6, s3
	v_add_co_u32_e64 v7, s[2:3], s2, v2
	v_addc_co_u32_e64 v6, s[2:3], v6, v3, s[2:3]
	v_mad_u64_u32 v[2:3], s[2:3], s18, v0, 0
	v_add_co_u32_e64 v8, s[2:3], 8, v7
	v_addc_co_u32_e64 v9, s[2:3], 0, v6, s[2:3]
	v_mul_lo_u32 v11, s18, v1
	s_mul_i32 s2, s21, s8
	s_mul_hi_u32 s3, s20, s8
	s_add_i32 s3, s3, s2
	s_mul_i32 s2, s20, s8
	s_lshl_b64 s[18:19], s[42:43], 4
	s_lshl_b64 s[2:3], s[2:3], 4
	;; [unrolled: 1-line block ×3, first 2 shown]
	s_add_u32 s6, s12, s6
	v_add3_u32 v3, v3, v11, v10
	s_addc_u32 s7, s13, s7
	v_lshlrev_b64 v[2:3], 4, v[2:3]
	s_add_u32 s2, s6, s2
	s_addc_u32 s3, s7, s3
	v_mov_b32_e32 v6, s3
	v_add_co_u32_e64 v2, s[2:3], s2, v2
	v_addc_co_u32_e64 v3, s[2:3], v6, v3, s[2:3]
	v_add_co_u32_e64 v10, s[2:3], 8, v2
	v_addc_co_u32_e64 v11, s[2:3], 0, v3, s[2:3]
	s_lshl_b64 s[12:13], s[16:17], 4
	v_mov_b32_e32 v2, 0
	v_mov_b32_e32 v6, 0
	;; [unrolled: 1-line block ×6, first 2 shown]
.LBB36_3:                               ; =>This Inner Loop Header: Depth=1
	global_load_dwordx4 v[14:17], v[8:9], off offset:-8
	global_load_dwordx4 v[18:21], v[10:11], off offset:-8
	s_add_u32 s28, s28, -1
	v_add_co_u32_e64 v10, s[2:3], s12, v10
	v_add_co_u32_e64 v8, s[6:7], s18, v8
	s_addc_u32 s29, s29, -1
	v_addc_co_u32_e64 v9, s[6:7], v9, v12, s[6:7]
	s_cmp_eq_u64 s[28:29], 0
	v_addc_co_u32_e64 v11, s[2:3], v11, v13, s[2:3]
	s_waitcnt vmcnt(1)
	v_xor_b32_e32 v22, 0x80000000, v17
	s_waitcnt vmcnt(0)
	v_xor_b32_e32 v23, 0x80000000, v21
	v_cndmask_b32_e32 v17, v17, v22, vcc
	v_cndmask_b32_e64 v21, v21, v23, s[0:1]
	v_mul_f64 v[22:23], v[16:17], v[20:21]
	v_mul_f64 v[16:17], v[16:17], v[18:19]
	v_fma_f64 v[18:19], v[14:15], v[18:19], -v[22:23]
	v_fma_f64 v[14:15], v[14:15], v[20:21], v[16:17]
	v_add_f64 v[6:7], v[6:7], v[18:19]
	v_add_f64 v[2:3], v[2:3], v[14:15]
	s_cbranch_scc0 .LBB36_3
	s_branch .LBB36_5
.LBB36_4:
	v_mov_b32_e32 v2, 0
	v_mov_b32_e32 v6, 0
	;; [unrolled: 1-line block ×4, first 2 shown]
.LBB36_5:
	s_waitcnt lgkmcnt(0)
	s_load_dwordx8 s[12:19], s[4:5], 0xa0
	s_waitcnt lgkmcnt(0)
	s_mul_i32 s1, s19, s8
	s_mul_hi_u32 s2, s18, s8
	v_mul_lo_u32 v8, v5, s14
	s_add_i32 s1, s2, s1
	v_mul_lo_u32 v9, v4, s15
	v_mad_u64_u32 v[4:5], s[2:3], v4, s14, 0
	s_mul_i32 s0, s18, s8
	s_lshl_b64 s[0:1], s[0:1], 4
	v_mul_lo_u32 v10, v1, s16
	v_mul_lo_u32 v11, v0, s17
	v_mad_u64_u32 v[0:1], s[2:3], v0, s16, 0
	s_add_u32 s4, s26, s0
	s_addc_u32 s5, s27, s1
	s_lshl_b64 s[0:1], s[12:13], 4
	v_add3_u32 v5, v5, v9, v8
	s_add_u32 s0, s4, s0
	v_lshlrev_b64 v[4:5], 4, v[4:5]
	s_addc_u32 s1, s5, s1
	v_add3_u32 v1, v1, v11, v10
	v_mov_b32_e32 v8, s1
	v_add_co_u32_e32 v4, vcc, s0, v4
	v_lshlrev_b64 v[0:1], 4, v[0:1]
	v_addc_co_u32_e32 v5, vcc, v8, v5, vcc
	v_add_co_u32_e32 v4, vcc, v4, v0
	v_addc_co_u32_e32 v5, vcc, v5, v1, vcc
	global_load_dwordx4 v[8:11], v[4:5], off
	v_mul_f64 v[0:1], s[10:11], v[2:3]
	v_mul_f64 v[2:3], s[30:31], v[2:3]
	v_fma_f64 v[0:1], s[30:31], v[6:7], -v[0:1]
	v_fma_f64 v[2:3], s[10:11], v[6:7], v[2:3]
	s_waitcnt vmcnt(0)
	v_mul_f64 v[12:13], s[24:25], v[10:11]
	v_mul_f64 v[10:11], s[22:23], v[10:11]
	v_fma_f64 v[6:7], s[22:23], v[8:9], -v[12:13]
	v_fma_f64 v[8:9], s[24:25], v[8:9], v[10:11]
	v_add_f64 v[0:1], v[0:1], v[6:7]
	v_add_f64 v[2:3], v[2:3], v[8:9]
	global_store_dwordx4 v[4:5], v[0:3], off
.LBB36_6:
	s_endpgm
	.section	.rodata,"a",@progbits
	.p2align	6, 0x0
	.amdhsa_kernel _ZN9rocsolver6v33100L11gemm_kernelI19rocblas_complex_numIdElS3_PS3_S4_S4_EEvT0_S5_S5_T1_bT2_lS5_S5_lbT3_lS5_S5_lS6_T4_lS5_S5_l
		.amdhsa_group_segment_fixed_size 0
		.amdhsa_private_segment_fixed_size 0
		.amdhsa_kernarg_size 448
		.amdhsa_user_sgpr_count 6
		.amdhsa_user_sgpr_private_segment_buffer 1
		.amdhsa_user_sgpr_dispatch_ptr 0
		.amdhsa_user_sgpr_queue_ptr 0
		.amdhsa_user_sgpr_kernarg_segment_ptr 1
		.amdhsa_user_sgpr_dispatch_id 0
		.amdhsa_user_sgpr_flat_scratch_init 0
		.amdhsa_user_sgpr_private_segment_size 0
		.amdhsa_uses_dynamic_stack 0
		.amdhsa_system_sgpr_private_segment_wavefront_offset 0
		.amdhsa_system_sgpr_workgroup_id_x 1
		.amdhsa_system_sgpr_workgroup_id_y 1
		.amdhsa_system_sgpr_workgroup_id_z 1
		.amdhsa_system_sgpr_workgroup_info 0
		.amdhsa_system_vgpr_workitem_id 1
		.amdhsa_next_free_vgpr 24
		.amdhsa_next_free_sgpr 44
		.amdhsa_reserve_vcc 1
		.amdhsa_reserve_flat_scratch 0
		.amdhsa_float_round_mode_32 0
		.amdhsa_float_round_mode_16_64 0
		.amdhsa_float_denorm_mode_32 3
		.amdhsa_float_denorm_mode_16_64 3
		.amdhsa_dx10_clamp 1
		.amdhsa_ieee_mode 1
		.amdhsa_fp16_overflow 0
		.amdhsa_exception_fp_ieee_invalid_op 0
		.amdhsa_exception_fp_denorm_src 0
		.amdhsa_exception_fp_ieee_div_zero 0
		.amdhsa_exception_fp_ieee_overflow 0
		.amdhsa_exception_fp_ieee_underflow 0
		.amdhsa_exception_fp_ieee_inexact 0
		.amdhsa_exception_int_div_zero 0
	.end_amdhsa_kernel
	.section	.text._ZN9rocsolver6v33100L11gemm_kernelI19rocblas_complex_numIdElS3_PS3_S4_S4_EEvT0_S5_S5_T1_bT2_lS5_S5_lbT3_lS5_S5_lS6_T4_lS5_S5_l,"axG",@progbits,_ZN9rocsolver6v33100L11gemm_kernelI19rocblas_complex_numIdElS3_PS3_S4_S4_EEvT0_S5_S5_T1_bT2_lS5_S5_lbT3_lS5_S5_lS6_T4_lS5_S5_l,comdat
.Lfunc_end36:
	.size	_ZN9rocsolver6v33100L11gemm_kernelI19rocblas_complex_numIdElS3_PS3_S4_S4_EEvT0_S5_S5_T1_bT2_lS5_S5_lbT3_lS5_S5_lS6_T4_lS5_S5_l, .Lfunc_end36-_ZN9rocsolver6v33100L11gemm_kernelI19rocblas_complex_numIdElS3_PS3_S4_S4_EEvT0_S5_S5_T1_bT2_lS5_S5_lbT3_lS5_S5_lS6_T4_lS5_S5_l
                                        ; -- End function
	.set _ZN9rocsolver6v33100L11gemm_kernelI19rocblas_complex_numIdElS3_PS3_S4_S4_EEvT0_S5_S5_T1_bT2_lS5_S5_lbT3_lS5_S5_lS6_T4_lS5_S5_l.num_vgpr, 24
	.set _ZN9rocsolver6v33100L11gemm_kernelI19rocblas_complex_numIdElS3_PS3_S4_S4_EEvT0_S5_S5_T1_bT2_lS5_S5_lbT3_lS5_S5_lS6_T4_lS5_S5_l.num_agpr, 0
	.set _ZN9rocsolver6v33100L11gemm_kernelI19rocblas_complex_numIdElS3_PS3_S4_S4_EEvT0_S5_S5_T1_bT2_lS5_S5_lbT3_lS5_S5_lS6_T4_lS5_S5_l.numbered_sgpr, 44
	.set _ZN9rocsolver6v33100L11gemm_kernelI19rocblas_complex_numIdElS3_PS3_S4_S4_EEvT0_S5_S5_T1_bT2_lS5_S5_lbT3_lS5_S5_lS6_T4_lS5_S5_l.num_named_barrier, 0
	.set _ZN9rocsolver6v33100L11gemm_kernelI19rocblas_complex_numIdElS3_PS3_S4_S4_EEvT0_S5_S5_T1_bT2_lS5_S5_lbT3_lS5_S5_lS6_T4_lS5_S5_l.private_seg_size, 0
	.set _ZN9rocsolver6v33100L11gemm_kernelI19rocblas_complex_numIdElS3_PS3_S4_S4_EEvT0_S5_S5_T1_bT2_lS5_S5_lbT3_lS5_S5_lS6_T4_lS5_S5_l.uses_vcc, 1
	.set _ZN9rocsolver6v33100L11gemm_kernelI19rocblas_complex_numIdElS3_PS3_S4_S4_EEvT0_S5_S5_T1_bT2_lS5_S5_lbT3_lS5_S5_lS6_T4_lS5_S5_l.uses_flat_scratch, 0
	.set _ZN9rocsolver6v33100L11gemm_kernelI19rocblas_complex_numIdElS3_PS3_S4_S4_EEvT0_S5_S5_T1_bT2_lS5_S5_lbT3_lS5_S5_lS6_T4_lS5_S5_l.has_dyn_sized_stack, 0
	.set _ZN9rocsolver6v33100L11gemm_kernelI19rocblas_complex_numIdElS3_PS3_S4_S4_EEvT0_S5_S5_T1_bT2_lS5_S5_lbT3_lS5_S5_lS6_T4_lS5_S5_l.has_recursion, 0
	.set _ZN9rocsolver6v33100L11gemm_kernelI19rocblas_complex_numIdElS3_PS3_S4_S4_EEvT0_S5_S5_T1_bT2_lS5_S5_lbT3_lS5_S5_lS6_T4_lS5_S5_l.has_indirect_call, 0
	.section	.AMDGPU.csdata,"",@progbits
; Kernel info:
; codeLenInByte = 868
; TotalNumSgprs: 48
; NumVgprs: 24
; ScratchSize: 0
; MemoryBound: 0
; FloatMode: 240
; IeeeMode: 1
; LDSByteSize: 0 bytes/workgroup (compile time only)
; SGPRBlocks: 5
; VGPRBlocks: 5
; NumSGPRsForWavesPerEU: 48
; NumVGPRsForWavesPerEU: 24
; Occupancy: 10
; WaveLimiterHint : 0
; COMPUTE_PGM_RSRC2:SCRATCH_EN: 0
; COMPUTE_PGM_RSRC2:USER_SGPR: 6
; COMPUTE_PGM_RSRC2:TRAP_HANDLER: 0
; COMPUTE_PGM_RSRC2:TGID_X_EN: 1
; COMPUTE_PGM_RSRC2:TGID_Y_EN: 1
; COMPUTE_PGM_RSRC2:TGID_Z_EN: 1
; COMPUTE_PGM_RSRC2:TIDIG_COMP_CNT: 1
	.section	.text._ZN9rocsolver6v33100L16mfma_gemm_kernelI19rocblas_complex_numIdElPKS3_PKPS3_S8_S8_EEv18rocblas_operation_S9_T0_SA_SA_T1_T2_lSA_SA_lT3_lSA_SA_lSB_T4_lSA_SA_l,"axG",@progbits,_ZN9rocsolver6v33100L16mfma_gemm_kernelI19rocblas_complex_numIdElPKS3_PKPS3_S8_S8_EEv18rocblas_operation_S9_T0_SA_SA_T1_T2_lSA_SA_lT3_lSA_SA_lSB_T4_lSA_SA_l,comdat
	.globl	_ZN9rocsolver6v33100L16mfma_gemm_kernelI19rocblas_complex_numIdElPKS3_PKPS3_S8_S8_EEv18rocblas_operation_S9_T0_SA_SA_T1_T2_lSA_SA_lT3_lSA_SA_lSB_T4_lSA_SA_l ; -- Begin function _ZN9rocsolver6v33100L16mfma_gemm_kernelI19rocblas_complex_numIdElPKS3_PKPS3_S8_S8_EEv18rocblas_operation_S9_T0_SA_SA_T1_T2_lSA_SA_lT3_lSA_SA_lSB_T4_lSA_SA_l
	.p2align	8
	.type	_ZN9rocsolver6v33100L16mfma_gemm_kernelI19rocblas_complex_numIdElPKS3_PKPS3_S8_S8_EEv18rocblas_operation_S9_T0_SA_SA_T1_T2_lSA_SA_lT3_lSA_SA_lSB_T4_lSA_SA_l,@function
_ZN9rocsolver6v33100L16mfma_gemm_kernelI19rocblas_complex_numIdElPKS3_PKPS3_S8_S8_EEv18rocblas_operation_S9_T0_SA_SA_T1_T2_lSA_SA_lT3_lSA_SA_lSB_T4_lSA_SA_l: ; @_ZN9rocsolver6v33100L16mfma_gemm_kernelI19rocblas_complex_numIdElPKS3_PKPS3_S8_S8_EEv18rocblas_operation_S9_T0_SA_SA_T1_T2_lSA_SA_lT3_lSA_SA_lSB_T4_lSA_SA_l
; %bb.0:
	s_endpgm
	.section	.rodata,"a",@progbits
	.p2align	6, 0x0
	.amdhsa_kernel _ZN9rocsolver6v33100L16mfma_gemm_kernelI19rocblas_complex_numIdElPKS3_PKPS3_S8_S8_EEv18rocblas_operation_S9_T0_SA_SA_T1_T2_lSA_SA_lT3_lSA_SA_lSB_T4_lSA_SA_l
		.amdhsa_group_segment_fixed_size 0
		.amdhsa_private_segment_fixed_size 0
		.amdhsa_kernarg_size 168
		.amdhsa_user_sgpr_count 6
		.amdhsa_user_sgpr_private_segment_buffer 1
		.amdhsa_user_sgpr_dispatch_ptr 0
		.amdhsa_user_sgpr_queue_ptr 0
		.amdhsa_user_sgpr_kernarg_segment_ptr 1
		.amdhsa_user_sgpr_dispatch_id 0
		.amdhsa_user_sgpr_flat_scratch_init 0
		.amdhsa_user_sgpr_private_segment_size 0
		.amdhsa_uses_dynamic_stack 0
		.amdhsa_system_sgpr_private_segment_wavefront_offset 0
		.amdhsa_system_sgpr_workgroup_id_x 1
		.amdhsa_system_sgpr_workgroup_id_y 0
		.amdhsa_system_sgpr_workgroup_id_z 0
		.amdhsa_system_sgpr_workgroup_info 0
		.amdhsa_system_vgpr_workitem_id 0
		.amdhsa_next_free_vgpr 1
		.amdhsa_next_free_sgpr 0
		.amdhsa_reserve_vcc 0
		.amdhsa_reserve_flat_scratch 0
		.amdhsa_float_round_mode_32 0
		.amdhsa_float_round_mode_16_64 0
		.amdhsa_float_denorm_mode_32 3
		.amdhsa_float_denorm_mode_16_64 3
		.amdhsa_dx10_clamp 1
		.amdhsa_ieee_mode 1
		.amdhsa_fp16_overflow 0
		.amdhsa_exception_fp_ieee_invalid_op 0
		.amdhsa_exception_fp_denorm_src 0
		.amdhsa_exception_fp_ieee_div_zero 0
		.amdhsa_exception_fp_ieee_overflow 0
		.amdhsa_exception_fp_ieee_underflow 0
		.amdhsa_exception_fp_ieee_inexact 0
		.amdhsa_exception_int_div_zero 0
	.end_amdhsa_kernel
	.section	.text._ZN9rocsolver6v33100L16mfma_gemm_kernelI19rocblas_complex_numIdElPKS3_PKPS3_S8_S8_EEv18rocblas_operation_S9_T0_SA_SA_T1_T2_lSA_SA_lT3_lSA_SA_lSB_T4_lSA_SA_l,"axG",@progbits,_ZN9rocsolver6v33100L16mfma_gemm_kernelI19rocblas_complex_numIdElPKS3_PKPS3_S8_S8_EEv18rocblas_operation_S9_T0_SA_SA_T1_T2_lSA_SA_lT3_lSA_SA_lSB_T4_lSA_SA_l,comdat
.Lfunc_end37:
	.size	_ZN9rocsolver6v33100L16mfma_gemm_kernelI19rocblas_complex_numIdElPKS3_PKPS3_S8_S8_EEv18rocblas_operation_S9_T0_SA_SA_T1_T2_lSA_SA_lT3_lSA_SA_lSB_T4_lSA_SA_l, .Lfunc_end37-_ZN9rocsolver6v33100L16mfma_gemm_kernelI19rocblas_complex_numIdElPKS3_PKPS3_S8_S8_EEv18rocblas_operation_S9_T0_SA_SA_T1_T2_lSA_SA_lT3_lSA_SA_lSB_T4_lSA_SA_l
                                        ; -- End function
	.set _ZN9rocsolver6v33100L16mfma_gemm_kernelI19rocblas_complex_numIdElPKS3_PKPS3_S8_S8_EEv18rocblas_operation_S9_T0_SA_SA_T1_T2_lSA_SA_lT3_lSA_SA_lSB_T4_lSA_SA_l.num_vgpr, 0
	.set _ZN9rocsolver6v33100L16mfma_gemm_kernelI19rocblas_complex_numIdElPKS3_PKPS3_S8_S8_EEv18rocblas_operation_S9_T0_SA_SA_T1_T2_lSA_SA_lT3_lSA_SA_lSB_T4_lSA_SA_l.num_agpr, 0
	.set _ZN9rocsolver6v33100L16mfma_gemm_kernelI19rocblas_complex_numIdElPKS3_PKPS3_S8_S8_EEv18rocblas_operation_S9_T0_SA_SA_T1_T2_lSA_SA_lT3_lSA_SA_lSB_T4_lSA_SA_l.numbered_sgpr, 0
	.set _ZN9rocsolver6v33100L16mfma_gemm_kernelI19rocblas_complex_numIdElPKS3_PKPS3_S8_S8_EEv18rocblas_operation_S9_T0_SA_SA_T1_T2_lSA_SA_lT3_lSA_SA_lSB_T4_lSA_SA_l.num_named_barrier, 0
	.set _ZN9rocsolver6v33100L16mfma_gemm_kernelI19rocblas_complex_numIdElPKS3_PKPS3_S8_S8_EEv18rocblas_operation_S9_T0_SA_SA_T1_T2_lSA_SA_lT3_lSA_SA_lSB_T4_lSA_SA_l.private_seg_size, 0
	.set _ZN9rocsolver6v33100L16mfma_gemm_kernelI19rocblas_complex_numIdElPKS3_PKPS3_S8_S8_EEv18rocblas_operation_S9_T0_SA_SA_T1_T2_lSA_SA_lT3_lSA_SA_lSB_T4_lSA_SA_l.uses_vcc, 0
	.set _ZN9rocsolver6v33100L16mfma_gemm_kernelI19rocblas_complex_numIdElPKS3_PKPS3_S8_S8_EEv18rocblas_operation_S9_T0_SA_SA_T1_T2_lSA_SA_lT3_lSA_SA_lSB_T4_lSA_SA_l.uses_flat_scratch, 0
	.set _ZN9rocsolver6v33100L16mfma_gemm_kernelI19rocblas_complex_numIdElPKS3_PKPS3_S8_S8_EEv18rocblas_operation_S9_T0_SA_SA_T1_T2_lSA_SA_lT3_lSA_SA_lSB_T4_lSA_SA_l.has_dyn_sized_stack, 0
	.set _ZN9rocsolver6v33100L16mfma_gemm_kernelI19rocblas_complex_numIdElPKS3_PKPS3_S8_S8_EEv18rocblas_operation_S9_T0_SA_SA_T1_T2_lSA_SA_lT3_lSA_SA_lSB_T4_lSA_SA_l.has_recursion, 0
	.set _ZN9rocsolver6v33100L16mfma_gemm_kernelI19rocblas_complex_numIdElPKS3_PKPS3_S8_S8_EEv18rocblas_operation_S9_T0_SA_SA_T1_T2_lSA_SA_lT3_lSA_SA_lSB_T4_lSA_SA_l.has_indirect_call, 0
	.section	.AMDGPU.csdata,"",@progbits
; Kernel info:
; codeLenInByte = 4
; TotalNumSgprs: 4
; NumVgprs: 0
; ScratchSize: 0
; MemoryBound: 0
; FloatMode: 240
; IeeeMode: 1
; LDSByteSize: 0 bytes/workgroup (compile time only)
; SGPRBlocks: 0
; VGPRBlocks: 0
; NumSGPRsForWavesPerEU: 4
; NumVGPRsForWavesPerEU: 1
; Occupancy: 10
; WaveLimiterHint : 0
; COMPUTE_PGM_RSRC2:SCRATCH_EN: 0
; COMPUTE_PGM_RSRC2:USER_SGPR: 6
; COMPUTE_PGM_RSRC2:TRAP_HANDLER: 0
; COMPUTE_PGM_RSRC2:TGID_X_EN: 1
; COMPUTE_PGM_RSRC2:TGID_Y_EN: 0
; COMPUTE_PGM_RSRC2:TGID_Z_EN: 0
; COMPUTE_PGM_RSRC2:TIDIG_COMP_CNT: 0
	.section	.text._ZN9rocsolver6v33100L16mfma_gemm_kernelI19rocblas_complex_numIdElS3_PKPS3_S6_S6_EEv18rocblas_operation_S7_T0_S8_S8_T1_T2_lS8_S8_lT3_lS8_S8_lS9_T4_lS8_S8_l,"axG",@progbits,_ZN9rocsolver6v33100L16mfma_gemm_kernelI19rocblas_complex_numIdElS3_PKPS3_S6_S6_EEv18rocblas_operation_S7_T0_S8_S8_T1_T2_lS8_S8_lT3_lS8_S8_lS9_T4_lS8_S8_l,comdat
	.globl	_ZN9rocsolver6v33100L16mfma_gemm_kernelI19rocblas_complex_numIdElS3_PKPS3_S6_S6_EEv18rocblas_operation_S7_T0_S8_S8_T1_T2_lS8_S8_lT3_lS8_S8_lS9_T4_lS8_S8_l ; -- Begin function _ZN9rocsolver6v33100L16mfma_gemm_kernelI19rocblas_complex_numIdElS3_PKPS3_S6_S6_EEv18rocblas_operation_S7_T0_S8_S8_T1_T2_lS8_S8_lT3_lS8_S8_lS9_T4_lS8_S8_l
	.p2align	8
	.type	_ZN9rocsolver6v33100L16mfma_gemm_kernelI19rocblas_complex_numIdElS3_PKPS3_S6_S6_EEv18rocblas_operation_S7_T0_S8_S8_T1_T2_lS8_S8_lT3_lS8_S8_lS9_T4_lS8_S8_l,@function
_ZN9rocsolver6v33100L16mfma_gemm_kernelI19rocblas_complex_numIdElS3_PKPS3_S6_S6_EEv18rocblas_operation_S7_T0_S8_S8_T1_T2_lS8_S8_lT3_lS8_S8_lS9_T4_lS8_S8_l: ; @_ZN9rocsolver6v33100L16mfma_gemm_kernelI19rocblas_complex_numIdElS3_PKPS3_S6_S6_EEv18rocblas_operation_S7_T0_S8_S8_T1_T2_lS8_S8_lT3_lS8_S8_lS9_T4_lS8_S8_l
; %bb.0:
	s_endpgm
	.section	.rodata,"a",@progbits
	.p2align	6, 0x0
	.amdhsa_kernel _ZN9rocsolver6v33100L16mfma_gemm_kernelI19rocblas_complex_numIdElS3_PKPS3_S6_S6_EEv18rocblas_operation_S7_T0_S8_S8_T1_T2_lS8_S8_lT3_lS8_S8_lS9_T4_lS8_S8_l
		.amdhsa_group_segment_fixed_size 0
		.amdhsa_private_segment_fixed_size 0
		.amdhsa_kernarg_size 184
		.amdhsa_user_sgpr_count 6
		.amdhsa_user_sgpr_private_segment_buffer 1
		.amdhsa_user_sgpr_dispatch_ptr 0
		.amdhsa_user_sgpr_queue_ptr 0
		.amdhsa_user_sgpr_kernarg_segment_ptr 1
		.amdhsa_user_sgpr_dispatch_id 0
		.amdhsa_user_sgpr_flat_scratch_init 0
		.amdhsa_user_sgpr_private_segment_size 0
		.amdhsa_uses_dynamic_stack 0
		.amdhsa_system_sgpr_private_segment_wavefront_offset 0
		.amdhsa_system_sgpr_workgroup_id_x 1
		.amdhsa_system_sgpr_workgroup_id_y 0
		.amdhsa_system_sgpr_workgroup_id_z 0
		.amdhsa_system_sgpr_workgroup_info 0
		.amdhsa_system_vgpr_workitem_id 0
		.amdhsa_next_free_vgpr 1
		.amdhsa_next_free_sgpr 0
		.amdhsa_reserve_vcc 0
		.amdhsa_reserve_flat_scratch 0
		.amdhsa_float_round_mode_32 0
		.amdhsa_float_round_mode_16_64 0
		.amdhsa_float_denorm_mode_32 3
		.amdhsa_float_denorm_mode_16_64 3
		.amdhsa_dx10_clamp 1
		.amdhsa_ieee_mode 1
		.amdhsa_fp16_overflow 0
		.amdhsa_exception_fp_ieee_invalid_op 0
		.amdhsa_exception_fp_denorm_src 0
		.amdhsa_exception_fp_ieee_div_zero 0
		.amdhsa_exception_fp_ieee_overflow 0
		.amdhsa_exception_fp_ieee_underflow 0
		.amdhsa_exception_fp_ieee_inexact 0
		.amdhsa_exception_int_div_zero 0
	.end_amdhsa_kernel
	.section	.text._ZN9rocsolver6v33100L16mfma_gemm_kernelI19rocblas_complex_numIdElS3_PKPS3_S6_S6_EEv18rocblas_operation_S7_T0_S8_S8_T1_T2_lS8_S8_lT3_lS8_S8_lS9_T4_lS8_S8_l,"axG",@progbits,_ZN9rocsolver6v33100L16mfma_gemm_kernelI19rocblas_complex_numIdElS3_PKPS3_S6_S6_EEv18rocblas_operation_S7_T0_S8_S8_T1_T2_lS8_S8_lT3_lS8_S8_lS9_T4_lS8_S8_l,comdat
.Lfunc_end38:
	.size	_ZN9rocsolver6v33100L16mfma_gemm_kernelI19rocblas_complex_numIdElS3_PKPS3_S6_S6_EEv18rocblas_operation_S7_T0_S8_S8_T1_T2_lS8_S8_lT3_lS8_S8_lS9_T4_lS8_S8_l, .Lfunc_end38-_ZN9rocsolver6v33100L16mfma_gemm_kernelI19rocblas_complex_numIdElS3_PKPS3_S6_S6_EEv18rocblas_operation_S7_T0_S8_S8_T1_T2_lS8_S8_lT3_lS8_S8_lS9_T4_lS8_S8_l
                                        ; -- End function
	.set _ZN9rocsolver6v33100L16mfma_gemm_kernelI19rocblas_complex_numIdElS3_PKPS3_S6_S6_EEv18rocblas_operation_S7_T0_S8_S8_T1_T2_lS8_S8_lT3_lS8_S8_lS9_T4_lS8_S8_l.num_vgpr, 0
	.set _ZN9rocsolver6v33100L16mfma_gemm_kernelI19rocblas_complex_numIdElS3_PKPS3_S6_S6_EEv18rocblas_operation_S7_T0_S8_S8_T1_T2_lS8_S8_lT3_lS8_S8_lS9_T4_lS8_S8_l.num_agpr, 0
	.set _ZN9rocsolver6v33100L16mfma_gemm_kernelI19rocblas_complex_numIdElS3_PKPS3_S6_S6_EEv18rocblas_operation_S7_T0_S8_S8_T1_T2_lS8_S8_lT3_lS8_S8_lS9_T4_lS8_S8_l.numbered_sgpr, 0
	.set _ZN9rocsolver6v33100L16mfma_gemm_kernelI19rocblas_complex_numIdElS3_PKPS3_S6_S6_EEv18rocblas_operation_S7_T0_S8_S8_T1_T2_lS8_S8_lT3_lS8_S8_lS9_T4_lS8_S8_l.num_named_barrier, 0
	.set _ZN9rocsolver6v33100L16mfma_gemm_kernelI19rocblas_complex_numIdElS3_PKPS3_S6_S6_EEv18rocblas_operation_S7_T0_S8_S8_T1_T2_lS8_S8_lT3_lS8_S8_lS9_T4_lS8_S8_l.private_seg_size, 0
	.set _ZN9rocsolver6v33100L16mfma_gemm_kernelI19rocblas_complex_numIdElS3_PKPS3_S6_S6_EEv18rocblas_operation_S7_T0_S8_S8_T1_T2_lS8_S8_lT3_lS8_S8_lS9_T4_lS8_S8_l.uses_vcc, 0
	.set _ZN9rocsolver6v33100L16mfma_gemm_kernelI19rocblas_complex_numIdElS3_PKPS3_S6_S6_EEv18rocblas_operation_S7_T0_S8_S8_T1_T2_lS8_S8_lT3_lS8_S8_lS9_T4_lS8_S8_l.uses_flat_scratch, 0
	.set _ZN9rocsolver6v33100L16mfma_gemm_kernelI19rocblas_complex_numIdElS3_PKPS3_S6_S6_EEv18rocblas_operation_S7_T0_S8_S8_T1_T2_lS8_S8_lT3_lS8_S8_lS9_T4_lS8_S8_l.has_dyn_sized_stack, 0
	.set _ZN9rocsolver6v33100L16mfma_gemm_kernelI19rocblas_complex_numIdElS3_PKPS3_S6_S6_EEv18rocblas_operation_S7_T0_S8_S8_T1_T2_lS8_S8_lT3_lS8_S8_lS9_T4_lS8_S8_l.has_recursion, 0
	.set _ZN9rocsolver6v33100L16mfma_gemm_kernelI19rocblas_complex_numIdElS3_PKPS3_S6_S6_EEv18rocblas_operation_S7_T0_S8_S8_T1_T2_lS8_S8_lT3_lS8_S8_lS9_T4_lS8_S8_l.has_indirect_call, 0
	.section	.AMDGPU.csdata,"",@progbits
; Kernel info:
; codeLenInByte = 4
; TotalNumSgprs: 4
; NumVgprs: 0
; ScratchSize: 0
; MemoryBound: 0
; FloatMode: 240
; IeeeMode: 1
; LDSByteSize: 0 bytes/workgroup (compile time only)
; SGPRBlocks: 0
; VGPRBlocks: 0
; NumSGPRsForWavesPerEU: 4
; NumVGPRsForWavesPerEU: 1
; Occupancy: 10
; WaveLimiterHint : 0
; COMPUTE_PGM_RSRC2:SCRATCH_EN: 0
; COMPUTE_PGM_RSRC2:USER_SGPR: 6
; COMPUTE_PGM_RSRC2:TRAP_HANDLER: 0
; COMPUTE_PGM_RSRC2:TGID_X_EN: 1
; COMPUTE_PGM_RSRC2:TGID_Y_EN: 0
; COMPUTE_PGM_RSRC2:TGID_Z_EN: 0
; COMPUTE_PGM_RSRC2:TIDIG_COMP_CNT: 0
	.section	.text._ZN9rocsolver6v33100L11gemm_kernelI19rocblas_complex_numIdElPKS3_PKPS3_S8_S8_EEvT0_S9_S9_T1_bT2_lS9_S9_lbT3_lS9_S9_lSA_T4_lS9_S9_l,"axG",@progbits,_ZN9rocsolver6v33100L11gemm_kernelI19rocblas_complex_numIdElPKS3_PKPS3_S8_S8_EEvT0_S9_S9_T1_bT2_lS9_S9_lbT3_lS9_S9_lSA_T4_lS9_S9_l,comdat
	.globl	_ZN9rocsolver6v33100L11gemm_kernelI19rocblas_complex_numIdElPKS3_PKPS3_S8_S8_EEvT0_S9_S9_T1_bT2_lS9_S9_lbT3_lS9_S9_lSA_T4_lS9_S9_l ; -- Begin function _ZN9rocsolver6v33100L11gemm_kernelI19rocblas_complex_numIdElPKS3_PKPS3_S8_S8_EEvT0_S9_S9_T1_bT2_lS9_S9_lbT3_lS9_S9_lSA_T4_lS9_S9_l
	.p2align	8
	.type	_ZN9rocsolver6v33100L11gemm_kernelI19rocblas_complex_numIdElPKS3_PKPS3_S8_S8_EEvT0_S9_S9_T1_bT2_lS9_S9_lbT3_lS9_S9_lSA_T4_lS9_S9_l,@function
_ZN9rocsolver6v33100L11gemm_kernelI19rocblas_complex_numIdElPKS3_PKPS3_S8_S8_EEvT0_S9_S9_T1_bT2_lS9_S9_lbT3_lS9_S9_lSA_T4_lS9_S9_l: ; @_ZN9rocsolver6v33100L11gemm_kernelI19rocblas_complex_numIdElPKS3_PKPS3_S8_S8_EEvT0_S9_S9_T1_bT2_lS9_S9_lbT3_lS9_S9_lSA_T4_lS9_S9_l
; %bb.0:
	s_load_dword s0, s[4:5], 0xbc
	s_load_dwordx8 s[12:19], s[4:5], 0x0
	v_mov_b32_e32 v2, v0
	v_mov_b32_e32 v3, 0
	;; [unrolled: 1-line block ×3, first 2 shown]
	s_waitcnt lgkmcnt(0)
	s_lshr_b32 s2, s0, 16
	s_and_b32 s0, s0, 0xffff
	v_mad_u64_u32 v[4:5], s[0:1], s0, v0, v[2:3]
	v_mov_b32_e32 v2, v3
	v_mov_b32_e32 v0, s7
	v_mad_u64_u32 v[0:1], s[0:1], s2, v0, v[1:2]
	v_cmp_gt_i64_e32 vcc, s[12:13], v[4:5]
	v_cmp_gt_i64_e64 s[0:1], s[14:15], v[0:1]
	s_and_b64 s[0:1], vcc, s[0:1]
	s_and_saveexec_b64 s[2:3], s[0:1]
	s_cbranch_execz .LBB39_6
; %bb.1:
	s_load_dwordx8 s[20:27], s[4:5], 0x80
	s_load_dwordx2 s[28:29], s[4:5], 0xa0
	s_mov_b32 s9, 0
	s_lshl_b64 s[0:1], s[8:9], 3
	s_waitcnt lgkmcnt(0)
	s_add_u32 s2, s22, s0
	s_addc_u32 s3, s23, s1
	s_load_dwordx2 s[22:23], s[2:3], 0x0
	v_cmp_lt_i64_e64 s[2:3], s[16:17], 1
	s_and_b64 vcc, exec, s[2:3]
	s_cbranch_vccnz .LBB39_4
; %bb.2:
	s_load_dwordx8 s[8:15], s[4:5], 0x28
	s_load_dword s6, s[4:5], 0x20
	s_load_dwordx8 s[36:43], s[4:5], 0x58
	s_load_dword s7, s[4:5], 0x50
	s_waitcnt lgkmcnt(0)
	s_add_u32 s2, s8, s0
	s_addc_u32 s3, s9, s1
	s_load_dwordx2 s[2:3], s[2:3], 0x0
	s_add_u32 s0, s36, s0
	s_addc_u32 s1, s37, s1
	s_bitcmp1_b32 s6, 0
	s_cselect_b64 vcc, -1, 0
	s_bitcmp1_b32 s7, 0
	s_load_dwordx2 s[4:5], s[0:1], 0x0
	s_cselect_b64 s[0:1], -1, 0
	s_lshl_b64 s[6:7], s[10:11], 4
	s_waitcnt lgkmcnt(0)
	s_add_u32 s6, s2, s6
	s_addc_u32 s7, s3, s7
	v_mul_lo_u32 v6, v5, s12
	v_mul_lo_u32 v7, v4, s13
	v_mad_u64_u32 v[2:3], s[2:3], v4, s12, 0
	s_lshl_b64 s[2:3], s[38:39], 4
	s_add_u32 s4, s4, s2
	s_addc_u32 s5, s5, s3
	v_add3_u32 v3, v3, v7, v6
	v_mul_lo_u32 v10, v1, s42
	v_mul_lo_u32 v11, v0, s43
	v_mad_u64_u32 v[6:7], s[2:3], v0, s42, 0
	v_lshlrev_b64 v[2:3], 4, v[2:3]
	v_mov_b32_e32 v9, s7
	v_add_co_u32_e64 v8, s[2:3], s6, v2
	v_add3_u32 v7, v7, v11, v10
	v_addc_co_u32_e64 v9, s[2:3], v9, v3, s[2:3]
	v_lshlrev_b64 v[2:3], 4, v[6:7]
	v_mov_b32_e32 v6, s5
	v_add_co_u32_e64 v10, s[2:3], s4, v2
	v_addc_co_u32_e64 v11, s[2:3], v6, v3, s[2:3]
	s_lshl_b64 s[6:7], s[40:41], 4
	s_lshl_b64 s[8:9], s[14:15], 4
	v_mov_b32_e32 v2, 0
	v_mov_b32_e32 v6, 0
	;; [unrolled: 1-line block ×6, first 2 shown]
.LBB39_3:                               ; =>This Inner Loop Header: Depth=1
	flat_load_dwordx4 v[14:17], v[8:9]
	flat_load_dwordx4 v[18:21], v[10:11]
	s_add_u32 s16, s16, -1
	v_add_co_u32_e64 v8, s[2:3], s8, v8
	v_add_co_u32_e64 v10, s[4:5], s6, v10
	s_addc_u32 s17, s17, -1
	v_addc_co_u32_e64 v11, s[4:5], v11, v12, s[4:5]
	s_cmp_eq_u64 s[16:17], 0
	v_addc_co_u32_e64 v9, s[2:3], v9, v13, s[2:3]
	s_waitcnt vmcnt(0) lgkmcnt(0)
	v_xor_b32_e32 v22, 0x80000000, v17
	v_xor_b32_e32 v23, 0x80000000, v21
	v_cndmask_b32_e32 v17, v17, v22, vcc
	v_cndmask_b32_e64 v21, v21, v23, s[0:1]
	v_mul_f64 v[22:23], v[16:17], v[20:21]
	v_mul_f64 v[16:17], v[16:17], v[18:19]
	v_fma_f64 v[18:19], v[14:15], v[18:19], -v[22:23]
	v_fma_f64 v[14:15], v[14:15], v[20:21], v[16:17]
	v_add_f64 v[6:7], v[6:7], v[18:19]
	v_add_f64 v[2:3], v[2:3], v[14:15]
	s_cbranch_scc0 .LBB39_3
	s_branch .LBB39_5
.LBB39_4:
	v_mov_b32_e32 v2, 0
	v_mov_b32_e32 v6, 0
	;; [unrolled: 1-line block ×4, first 2 shown]
.LBB39_5:
	v_mul_lo_u32 v8, v5, s26
	v_mul_lo_u32 v9, v4, s27
	v_mad_u64_u32 v[4:5], s[10:11], v4, s26, 0
	v_mul_lo_u32 v10, v1, s28
	v_mul_lo_u32 v11, v0, s29
	v_mad_u64_u32 v[0:1], s[10:11], v0, s28, 0
	s_lshl_b64 s[8:9], s[24:25], 4
	v_add3_u32 v5, v5, v9, v8
	s_waitcnt lgkmcnt(0)
	s_add_u32 s8, s22, s8
	v_lshlrev_b64 v[4:5], 4, v[4:5]
	s_addc_u32 s9, s23, s9
	v_add3_u32 v1, v1, v11, v10
	v_mov_b32_e32 v8, s9
	v_add_co_u32_e32 v4, vcc, s8, v4
	v_lshlrev_b64 v[0:1], 4, v[0:1]
	v_addc_co_u32_e32 v5, vcc, v8, v5, vcc
	v_add_co_u32_e32 v4, vcc, v4, v0
	v_addc_co_u32_e32 v5, vcc, v5, v1, vcc
	s_load_dwordx4 s[4:7], s[18:19], 0x0
	s_load_dwordx4 s[0:3], s[20:21], 0x0
	flat_load_dwordx4 v[8:11], v[4:5]
	s_waitcnt lgkmcnt(0)
	v_mul_f64 v[0:1], s[6:7], v[2:3]
	v_mul_f64 v[2:3], s[4:5], v[2:3]
	v_fma_f64 v[0:1], s[4:5], v[6:7], -v[0:1]
	v_fma_f64 v[2:3], s[6:7], v[6:7], v[2:3]
	s_waitcnt vmcnt(0)
	v_mul_f64 v[12:13], s[2:3], v[10:11]
	v_mul_f64 v[10:11], s[0:1], v[10:11]
	v_fma_f64 v[6:7], s[0:1], v[8:9], -v[12:13]
	v_fma_f64 v[8:9], s[2:3], v[8:9], v[10:11]
	v_add_f64 v[0:1], v[0:1], v[6:7]
	v_add_f64 v[2:3], v[2:3], v[8:9]
	flat_store_dwordx4 v[4:5], v[0:3]
.LBB39_6:
	s_endpgm
	.section	.rodata,"a",@progbits
	.p2align	6, 0x0
	.amdhsa_kernel _ZN9rocsolver6v33100L11gemm_kernelI19rocblas_complex_numIdElPKS3_PKPS3_S8_S8_EEvT0_S9_S9_T1_bT2_lS9_S9_lbT3_lS9_S9_lSA_T4_lS9_S9_l
		.amdhsa_group_segment_fixed_size 0
		.amdhsa_private_segment_fixed_size 0
		.amdhsa_kernarg_size 432
		.amdhsa_user_sgpr_count 6
		.amdhsa_user_sgpr_private_segment_buffer 1
		.amdhsa_user_sgpr_dispatch_ptr 0
		.amdhsa_user_sgpr_queue_ptr 0
		.amdhsa_user_sgpr_kernarg_segment_ptr 1
		.amdhsa_user_sgpr_dispatch_id 0
		.amdhsa_user_sgpr_flat_scratch_init 0
		.amdhsa_user_sgpr_private_segment_size 0
		.amdhsa_uses_dynamic_stack 0
		.amdhsa_system_sgpr_private_segment_wavefront_offset 0
		.amdhsa_system_sgpr_workgroup_id_x 1
		.amdhsa_system_sgpr_workgroup_id_y 1
		.amdhsa_system_sgpr_workgroup_id_z 1
		.amdhsa_system_sgpr_workgroup_info 0
		.amdhsa_system_vgpr_workitem_id 1
		.amdhsa_next_free_vgpr 24
		.amdhsa_next_free_sgpr 44
		.amdhsa_reserve_vcc 1
		.amdhsa_reserve_flat_scratch 0
		.amdhsa_float_round_mode_32 0
		.amdhsa_float_round_mode_16_64 0
		.amdhsa_float_denorm_mode_32 3
		.amdhsa_float_denorm_mode_16_64 3
		.amdhsa_dx10_clamp 1
		.amdhsa_ieee_mode 1
		.amdhsa_fp16_overflow 0
		.amdhsa_exception_fp_ieee_invalid_op 0
		.amdhsa_exception_fp_denorm_src 0
		.amdhsa_exception_fp_ieee_div_zero 0
		.amdhsa_exception_fp_ieee_overflow 0
		.amdhsa_exception_fp_ieee_underflow 0
		.amdhsa_exception_fp_ieee_inexact 0
		.amdhsa_exception_int_div_zero 0
	.end_amdhsa_kernel
	.section	.text._ZN9rocsolver6v33100L11gemm_kernelI19rocblas_complex_numIdElPKS3_PKPS3_S8_S8_EEvT0_S9_S9_T1_bT2_lS9_S9_lbT3_lS9_S9_lSA_T4_lS9_S9_l,"axG",@progbits,_ZN9rocsolver6v33100L11gemm_kernelI19rocblas_complex_numIdElPKS3_PKPS3_S8_S8_EEvT0_S9_S9_T1_bT2_lS9_S9_lbT3_lS9_S9_lSA_T4_lS9_S9_l,comdat
.Lfunc_end39:
	.size	_ZN9rocsolver6v33100L11gemm_kernelI19rocblas_complex_numIdElPKS3_PKPS3_S8_S8_EEvT0_S9_S9_T1_bT2_lS9_S9_lbT3_lS9_S9_lSA_T4_lS9_S9_l, .Lfunc_end39-_ZN9rocsolver6v33100L11gemm_kernelI19rocblas_complex_numIdElPKS3_PKPS3_S8_S8_EEvT0_S9_S9_T1_bT2_lS9_S9_lbT3_lS9_S9_lSA_T4_lS9_S9_l
                                        ; -- End function
	.set _ZN9rocsolver6v33100L11gemm_kernelI19rocblas_complex_numIdElPKS3_PKPS3_S8_S8_EEvT0_S9_S9_T1_bT2_lS9_S9_lbT3_lS9_S9_lSA_T4_lS9_S9_l.num_vgpr, 24
	.set _ZN9rocsolver6v33100L11gemm_kernelI19rocblas_complex_numIdElPKS3_PKPS3_S8_S8_EEvT0_S9_S9_T1_bT2_lS9_S9_lbT3_lS9_S9_lSA_T4_lS9_S9_l.num_agpr, 0
	.set _ZN9rocsolver6v33100L11gemm_kernelI19rocblas_complex_numIdElPKS3_PKPS3_S8_S8_EEvT0_S9_S9_T1_bT2_lS9_S9_lbT3_lS9_S9_lSA_T4_lS9_S9_l.numbered_sgpr, 44
	.set _ZN9rocsolver6v33100L11gemm_kernelI19rocblas_complex_numIdElPKS3_PKPS3_S8_S8_EEvT0_S9_S9_T1_bT2_lS9_S9_lbT3_lS9_S9_lSA_T4_lS9_S9_l.num_named_barrier, 0
	.set _ZN9rocsolver6v33100L11gemm_kernelI19rocblas_complex_numIdElPKS3_PKPS3_S8_S8_EEvT0_S9_S9_T1_bT2_lS9_S9_lbT3_lS9_S9_lSA_T4_lS9_S9_l.private_seg_size, 0
	.set _ZN9rocsolver6v33100L11gemm_kernelI19rocblas_complex_numIdElPKS3_PKPS3_S8_S8_EEvT0_S9_S9_T1_bT2_lS9_S9_lbT3_lS9_S9_lSA_T4_lS9_S9_l.uses_vcc, 1
	.set _ZN9rocsolver6v33100L11gemm_kernelI19rocblas_complex_numIdElPKS3_PKPS3_S8_S8_EEvT0_S9_S9_T1_bT2_lS9_S9_lbT3_lS9_S9_lSA_T4_lS9_S9_l.uses_flat_scratch, 0
	.set _ZN9rocsolver6v33100L11gemm_kernelI19rocblas_complex_numIdElPKS3_PKPS3_S8_S8_EEvT0_S9_S9_T1_bT2_lS9_S9_lbT3_lS9_S9_lSA_T4_lS9_S9_l.has_dyn_sized_stack, 0
	.set _ZN9rocsolver6v33100L11gemm_kernelI19rocblas_complex_numIdElPKS3_PKPS3_S8_S8_EEvT0_S9_S9_T1_bT2_lS9_S9_lbT3_lS9_S9_lSA_T4_lS9_S9_l.has_recursion, 0
	.set _ZN9rocsolver6v33100L11gemm_kernelI19rocblas_complex_numIdElPKS3_PKPS3_S8_S8_EEvT0_S9_S9_T1_bT2_lS9_S9_lbT3_lS9_S9_lSA_T4_lS9_S9_l.has_indirect_call, 0
	.section	.AMDGPU.csdata,"",@progbits
; Kernel info:
; codeLenInByte = 820
; TotalNumSgprs: 48
; NumVgprs: 24
; ScratchSize: 0
; MemoryBound: 0
; FloatMode: 240
; IeeeMode: 1
; LDSByteSize: 0 bytes/workgroup (compile time only)
; SGPRBlocks: 5
; VGPRBlocks: 5
; NumSGPRsForWavesPerEU: 48
; NumVGPRsForWavesPerEU: 24
; Occupancy: 10
; WaveLimiterHint : 1
; COMPUTE_PGM_RSRC2:SCRATCH_EN: 0
; COMPUTE_PGM_RSRC2:USER_SGPR: 6
; COMPUTE_PGM_RSRC2:TRAP_HANDLER: 0
; COMPUTE_PGM_RSRC2:TGID_X_EN: 1
; COMPUTE_PGM_RSRC2:TGID_Y_EN: 1
; COMPUTE_PGM_RSRC2:TGID_Z_EN: 1
; COMPUTE_PGM_RSRC2:TIDIG_COMP_CNT: 1
	.section	.text._ZN9rocsolver6v33100L11gemm_kernelI19rocblas_complex_numIdElS3_PKPS3_S6_S6_EEvT0_S7_S7_T1_bT2_lS7_S7_lbT3_lS7_S7_lS8_T4_lS7_S7_l,"axG",@progbits,_ZN9rocsolver6v33100L11gemm_kernelI19rocblas_complex_numIdElS3_PKPS3_S6_S6_EEvT0_S7_S7_T1_bT2_lS7_S7_lbT3_lS7_S7_lS8_T4_lS7_S7_l,comdat
	.globl	_ZN9rocsolver6v33100L11gemm_kernelI19rocblas_complex_numIdElS3_PKPS3_S6_S6_EEvT0_S7_S7_T1_bT2_lS7_S7_lbT3_lS7_S7_lS8_T4_lS7_S7_l ; -- Begin function _ZN9rocsolver6v33100L11gemm_kernelI19rocblas_complex_numIdElS3_PKPS3_S6_S6_EEvT0_S7_S7_T1_bT2_lS7_S7_lbT3_lS7_S7_lS8_T4_lS7_S7_l
	.p2align	8
	.type	_ZN9rocsolver6v33100L11gemm_kernelI19rocblas_complex_numIdElS3_PKPS3_S6_S6_EEvT0_S7_S7_T1_bT2_lS7_S7_lbT3_lS7_S7_lS8_T4_lS7_S7_l,@function
_ZN9rocsolver6v33100L11gemm_kernelI19rocblas_complex_numIdElS3_PKPS3_S6_S6_EEvT0_S7_S7_T1_bT2_lS7_S7_lbT3_lS7_S7_lS8_T4_lS7_S7_l: ; @_ZN9rocsolver6v33100L11gemm_kernelI19rocblas_complex_numIdElS3_PKPS3_S6_S6_EEvT0_S7_S7_T1_bT2_lS7_S7_lbT3_lS7_S7_lS8_T4_lS7_S7_l
; %bb.0:
	s_load_dword s0, s[4:5], 0xcc
	s_load_dwordx8 s[12:19], s[4:5], 0x0
	v_mov_b32_e32 v2, v0
	v_mov_b32_e32 v3, 0
	;; [unrolled: 1-line block ×3, first 2 shown]
	s_waitcnt lgkmcnt(0)
	s_lshr_b32 s2, s0, 16
	s_and_b32 s0, s0, 0xffff
	v_mad_u64_u32 v[4:5], s[0:1], s0, v0, v[2:3]
	v_mov_b32_e32 v2, v3
	v_mov_b32_e32 v0, s7
	v_mad_u64_u32 v[0:1], s[0:1], s2, v0, v[1:2]
	v_cmp_gt_i64_e32 vcc, s[12:13], v[4:5]
	v_cmp_gt_i64_e64 s[0:1], s[14:15], v[0:1]
	s_and_b64 s[0:1], vcc, s[0:1]
	s_and_saveexec_b64 s[2:3], s[0:1]
	s_cbranch_execz .LBB40_6
; %bb.1:
	s_load_dwordx8 s[20:27], s[4:5], 0x88
	s_load_dwordx2 s[6:7], s[4:5], 0x20
	s_load_dwordx4 s[28:31], s[4:5], 0xa8
	s_mov_b32 s9, 0
	s_lshl_b64 s[0:1], s[8:9], 3
	s_waitcnt lgkmcnt(0)
	s_add_u32 s2, s24, s0
	s_addc_u32 s3, s25, s1
	s_load_dwordx2 s[24:25], s[2:3], 0x0
	v_cmp_lt_i64_e64 s[2:3], s[16:17], 1
	s_and_b64 vcc, exec, s[2:3]
	s_cbranch_vccnz .LBB40_4
; %bb.2:
	s_load_dwordx8 s[8:15], s[4:5], 0x30
	s_load_dword s33, s[4:5], 0x28
	s_load_dwordx8 s[36:43], s[4:5], 0x60
	s_load_dword s34, s[4:5], 0x58
	s_waitcnt lgkmcnt(0)
	s_add_u32 s2, s8, s0
	s_addc_u32 s3, s9, s1
	s_load_dwordx2 s[2:3], s[2:3], 0x0
	s_add_u32 s0, s36, s0
	s_addc_u32 s1, s37, s1
	s_bitcmp1_b32 s33, 0
	s_cselect_b64 vcc, -1, 0
	s_bitcmp1_b32 s34, 0
	s_load_dwordx2 s[4:5], s[0:1], 0x0
	s_cselect_b64 s[0:1], -1, 0
	s_lshl_b64 s[8:9], s[10:11], 4
	s_waitcnt lgkmcnt(0)
	s_add_u32 s8, s2, s8
	s_addc_u32 s9, s3, s9
	v_mul_lo_u32 v6, v5, s12
	v_mul_lo_u32 v7, v4, s13
	v_mad_u64_u32 v[2:3], s[2:3], v4, s12, 0
	s_lshl_b64 s[2:3], s[38:39], 4
	s_add_u32 s4, s4, s2
	s_addc_u32 s5, s5, s3
	v_add3_u32 v3, v3, v7, v6
	v_mul_lo_u32 v10, v1, s42
	v_mul_lo_u32 v11, v0, s43
	v_mad_u64_u32 v[6:7], s[2:3], v0, s42, 0
	v_lshlrev_b64 v[2:3], 4, v[2:3]
	v_mov_b32_e32 v9, s9
	v_add_co_u32_e64 v8, s[2:3], s8, v2
	v_add3_u32 v7, v7, v11, v10
	v_addc_co_u32_e64 v9, s[2:3], v9, v3, s[2:3]
	v_lshlrev_b64 v[2:3], 4, v[6:7]
	v_mov_b32_e32 v6, s5
	v_add_co_u32_e64 v10, s[2:3], s4, v2
	v_addc_co_u32_e64 v11, s[2:3], v6, v3, s[2:3]
	s_lshl_b64 s[8:9], s[40:41], 4
	s_lshl_b64 s[10:11], s[14:15], 4
	v_mov_b32_e32 v2, 0
	v_mov_b32_e32 v6, 0
	;; [unrolled: 1-line block ×6, first 2 shown]
.LBB40_3:                               ; =>This Inner Loop Header: Depth=1
	flat_load_dwordx4 v[14:17], v[8:9]
	flat_load_dwordx4 v[18:21], v[10:11]
	s_add_u32 s16, s16, -1
	v_add_co_u32_e64 v8, s[2:3], s10, v8
	v_add_co_u32_e64 v10, s[4:5], s8, v10
	s_addc_u32 s17, s17, -1
	v_addc_co_u32_e64 v11, s[4:5], v11, v12, s[4:5]
	s_cmp_eq_u64 s[16:17], 0
	v_addc_co_u32_e64 v9, s[2:3], v9, v13, s[2:3]
	s_waitcnt vmcnt(0) lgkmcnt(0)
	v_xor_b32_e32 v22, 0x80000000, v17
	v_xor_b32_e32 v23, 0x80000000, v21
	v_cndmask_b32_e32 v17, v17, v22, vcc
	v_cndmask_b32_e64 v21, v21, v23, s[0:1]
	v_mul_f64 v[22:23], v[16:17], v[20:21]
	v_mul_f64 v[16:17], v[16:17], v[18:19]
	v_fma_f64 v[18:19], v[14:15], v[18:19], -v[22:23]
	v_fma_f64 v[14:15], v[14:15], v[20:21], v[16:17]
	v_add_f64 v[6:7], v[6:7], v[18:19]
	v_add_f64 v[2:3], v[2:3], v[14:15]
	s_cbranch_scc0 .LBB40_3
	s_branch .LBB40_5
.LBB40_4:
	v_mov_b32_e32 v2, 0
	v_mov_b32_e32 v6, 0
	;; [unrolled: 1-line block ×4, first 2 shown]
.LBB40_5:
	v_mul_lo_u32 v8, v5, s28
	v_mul_lo_u32 v9, v4, s29
	v_mad_u64_u32 v[4:5], s[2:3], v4, s28, 0
	v_mul_lo_u32 v10, v1, s30
	v_mul_lo_u32 v11, v0, s31
	v_mad_u64_u32 v[0:1], s[2:3], v0, s30, 0
	s_lshl_b64 s[0:1], s[26:27], 4
	v_add3_u32 v5, v5, v9, v8
	s_waitcnt lgkmcnt(0)
	s_add_u32 s0, s24, s0
	v_lshlrev_b64 v[4:5], 4, v[4:5]
	s_addc_u32 s1, s25, s1
	v_add3_u32 v1, v1, v11, v10
	v_mov_b32_e32 v8, s1
	v_add_co_u32_e32 v4, vcc, s0, v4
	v_lshlrev_b64 v[0:1], 4, v[0:1]
	v_addc_co_u32_e32 v5, vcc, v8, v5, vcc
	v_add_co_u32_e32 v4, vcc, v4, v0
	v_addc_co_u32_e32 v5, vcc, v5, v1, vcc
	flat_load_dwordx4 v[8:11], v[4:5]
	v_mul_f64 v[0:1], s[6:7], v[2:3]
	v_mul_f64 v[2:3], s[18:19], v[2:3]
	v_fma_f64 v[0:1], s[18:19], v[6:7], -v[0:1]
	v_fma_f64 v[2:3], s[6:7], v[6:7], v[2:3]
	s_waitcnt vmcnt(0) lgkmcnt(0)
	v_mul_f64 v[12:13], s[22:23], v[10:11]
	v_mul_f64 v[10:11], s[20:21], v[10:11]
	v_fma_f64 v[6:7], s[20:21], v[8:9], -v[12:13]
	v_fma_f64 v[8:9], s[22:23], v[8:9], v[10:11]
	v_add_f64 v[0:1], v[0:1], v[6:7]
	v_add_f64 v[2:3], v[2:3], v[8:9]
	flat_store_dwordx4 v[4:5], v[0:3]
.LBB40_6:
	s_endpgm
	.section	.rodata,"a",@progbits
	.p2align	6, 0x0
	.amdhsa_kernel _ZN9rocsolver6v33100L11gemm_kernelI19rocblas_complex_numIdElS3_PKPS3_S6_S6_EEvT0_S7_S7_T1_bT2_lS7_S7_lbT3_lS7_S7_lS8_T4_lS7_S7_l
		.amdhsa_group_segment_fixed_size 0
		.amdhsa_private_segment_fixed_size 0
		.amdhsa_kernarg_size 448
		.amdhsa_user_sgpr_count 6
		.amdhsa_user_sgpr_private_segment_buffer 1
		.amdhsa_user_sgpr_dispatch_ptr 0
		.amdhsa_user_sgpr_queue_ptr 0
		.amdhsa_user_sgpr_kernarg_segment_ptr 1
		.amdhsa_user_sgpr_dispatch_id 0
		.amdhsa_user_sgpr_flat_scratch_init 0
		.amdhsa_user_sgpr_private_segment_size 0
		.amdhsa_uses_dynamic_stack 0
		.amdhsa_system_sgpr_private_segment_wavefront_offset 0
		.amdhsa_system_sgpr_workgroup_id_x 1
		.amdhsa_system_sgpr_workgroup_id_y 1
		.amdhsa_system_sgpr_workgroup_id_z 1
		.amdhsa_system_sgpr_workgroup_info 0
		.amdhsa_system_vgpr_workitem_id 1
		.amdhsa_next_free_vgpr 24
		.amdhsa_next_free_sgpr 44
		.amdhsa_reserve_vcc 1
		.amdhsa_reserve_flat_scratch 0
		.amdhsa_float_round_mode_32 0
		.amdhsa_float_round_mode_16_64 0
		.amdhsa_float_denorm_mode_32 3
		.amdhsa_float_denorm_mode_16_64 3
		.amdhsa_dx10_clamp 1
		.amdhsa_ieee_mode 1
		.amdhsa_fp16_overflow 0
		.amdhsa_exception_fp_ieee_invalid_op 0
		.amdhsa_exception_fp_denorm_src 0
		.amdhsa_exception_fp_ieee_div_zero 0
		.amdhsa_exception_fp_ieee_overflow 0
		.amdhsa_exception_fp_ieee_underflow 0
		.amdhsa_exception_fp_ieee_inexact 0
		.amdhsa_exception_int_div_zero 0
	.end_amdhsa_kernel
	.section	.text._ZN9rocsolver6v33100L11gemm_kernelI19rocblas_complex_numIdElS3_PKPS3_S6_S6_EEvT0_S7_S7_T1_bT2_lS7_S7_lbT3_lS7_S7_lS8_T4_lS7_S7_l,"axG",@progbits,_ZN9rocsolver6v33100L11gemm_kernelI19rocblas_complex_numIdElS3_PKPS3_S6_S6_EEvT0_S7_S7_T1_bT2_lS7_S7_lbT3_lS7_S7_lS8_T4_lS7_S7_l,comdat
.Lfunc_end40:
	.size	_ZN9rocsolver6v33100L11gemm_kernelI19rocblas_complex_numIdElS3_PKPS3_S6_S6_EEvT0_S7_S7_T1_bT2_lS7_S7_lbT3_lS7_S7_lS8_T4_lS7_S7_l, .Lfunc_end40-_ZN9rocsolver6v33100L11gemm_kernelI19rocblas_complex_numIdElS3_PKPS3_S6_S6_EEvT0_S7_S7_T1_bT2_lS7_S7_lbT3_lS7_S7_lS8_T4_lS7_S7_l
                                        ; -- End function
	.set _ZN9rocsolver6v33100L11gemm_kernelI19rocblas_complex_numIdElS3_PKPS3_S6_S6_EEvT0_S7_S7_T1_bT2_lS7_S7_lbT3_lS7_S7_lS8_T4_lS7_S7_l.num_vgpr, 24
	.set _ZN9rocsolver6v33100L11gemm_kernelI19rocblas_complex_numIdElS3_PKPS3_S6_S6_EEvT0_S7_S7_T1_bT2_lS7_S7_lbT3_lS7_S7_lS8_T4_lS7_S7_l.num_agpr, 0
	.set _ZN9rocsolver6v33100L11gemm_kernelI19rocblas_complex_numIdElS3_PKPS3_S6_S6_EEvT0_S7_S7_T1_bT2_lS7_S7_lbT3_lS7_S7_lS8_T4_lS7_S7_l.numbered_sgpr, 44
	.set _ZN9rocsolver6v33100L11gemm_kernelI19rocblas_complex_numIdElS3_PKPS3_S6_S6_EEvT0_S7_S7_T1_bT2_lS7_S7_lbT3_lS7_S7_lS8_T4_lS7_S7_l.num_named_barrier, 0
	.set _ZN9rocsolver6v33100L11gemm_kernelI19rocblas_complex_numIdElS3_PKPS3_S6_S6_EEvT0_S7_S7_T1_bT2_lS7_S7_lbT3_lS7_S7_lS8_T4_lS7_S7_l.private_seg_size, 0
	.set _ZN9rocsolver6v33100L11gemm_kernelI19rocblas_complex_numIdElS3_PKPS3_S6_S6_EEvT0_S7_S7_T1_bT2_lS7_S7_lbT3_lS7_S7_lS8_T4_lS7_S7_l.uses_vcc, 1
	.set _ZN9rocsolver6v33100L11gemm_kernelI19rocblas_complex_numIdElS3_PKPS3_S6_S6_EEvT0_S7_S7_T1_bT2_lS7_S7_lbT3_lS7_S7_lS8_T4_lS7_S7_l.uses_flat_scratch, 0
	.set _ZN9rocsolver6v33100L11gemm_kernelI19rocblas_complex_numIdElS3_PKPS3_S6_S6_EEvT0_S7_S7_T1_bT2_lS7_S7_lbT3_lS7_S7_lS8_T4_lS7_S7_l.has_dyn_sized_stack, 0
	.set _ZN9rocsolver6v33100L11gemm_kernelI19rocblas_complex_numIdElS3_PKPS3_S6_S6_EEvT0_S7_S7_T1_bT2_lS7_S7_lbT3_lS7_S7_lS8_T4_lS7_S7_l.has_recursion, 0
	.set _ZN9rocsolver6v33100L11gemm_kernelI19rocblas_complex_numIdElS3_PKPS3_S6_S6_EEvT0_S7_S7_T1_bT2_lS7_S7_lbT3_lS7_S7_lS8_T4_lS7_S7_l.has_indirect_call, 0
	.section	.AMDGPU.csdata,"",@progbits
; Kernel info:
; codeLenInByte = 808
; TotalNumSgprs: 48
; NumVgprs: 24
; ScratchSize: 0
; MemoryBound: 0
; FloatMode: 240
; IeeeMode: 1
; LDSByteSize: 0 bytes/workgroup (compile time only)
; SGPRBlocks: 5
; VGPRBlocks: 5
; NumSGPRsForWavesPerEU: 48
; NumVGPRsForWavesPerEU: 24
; Occupancy: 10
; WaveLimiterHint : 1
; COMPUTE_PGM_RSRC2:SCRATCH_EN: 0
; COMPUTE_PGM_RSRC2:USER_SGPR: 6
; COMPUTE_PGM_RSRC2:TRAP_HANDLER: 0
; COMPUTE_PGM_RSRC2:TGID_X_EN: 1
; COMPUTE_PGM_RSRC2:TGID_Y_EN: 1
; COMPUTE_PGM_RSRC2:TGID_Z_EN: 1
; COMPUTE_PGM_RSRC2:TIDIG_COMP_CNT: 1
	.section	.text._ZN9rocsolver6v33100L9get_arrayI19rocblas_complex_numIdElEEvPPT_S5_lT0_,"axG",@progbits,_ZN9rocsolver6v33100L9get_arrayI19rocblas_complex_numIdElEEvPPT_S5_lT0_,comdat
	.globl	_ZN9rocsolver6v33100L9get_arrayI19rocblas_complex_numIdElEEvPPT_S5_lT0_ ; -- Begin function _ZN9rocsolver6v33100L9get_arrayI19rocblas_complex_numIdElEEvPPT_S5_lT0_
	.p2align	8
	.type	_ZN9rocsolver6v33100L9get_arrayI19rocblas_complex_numIdElEEvPPT_S5_lT0_,@function
_ZN9rocsolver6v33100L9get_arrayI19rocblas_complex_numIdElEEvPPT_S5_lT0_: ; @_ZN9rocsolver6v33100L9get_arrayI19rocblas_complex_numIdElEEvPPT_S5_lT0_
; %bb.0:
	s_load_dword s0, s[4:5], 0x2c
	v_mov_b32_e32 v1, 0
	s_load_dwordx8 s[8:15], s[4:5], 0x0
	v_mov_b32_e32 v2, s6
	s_waitcnt lgkmcnt(0)
	s_and_b32 s0, s0, 0xffff
	v_mad_u64_u32 v[0:1], s[0:1], s0, v2, v[0:1]
	v_cmp_gt_i64_e32 vcc, s[14:15], v[0:1]
	s_and_saveexec_b64 s[0:1], vcc
	s_cbranch_execz .LBB41_2
; %bb.1:
	v_mul_lo_u32 v4, v1, s12
	v_mul_lo_u32 v5, v0, s13
	v_mad_u64_u32 v[2:3], s[0:1], v0, s12, 0
	v_lshlrev_b64 v[0:1], 3, v[0:1]
	v_add3_u32 v3, v3, v5, v4
	v_lshlrev_b64 v[2:3], 4, v[2:3]
	v_mov_b32_e32 v4, s11
	v_add_co_u32_e32 v2, vcc, s10, v2
	v_addc_co_u32_e32 v3, vcc, v4, v3, vcc
	v_mov_b32_e32 v4, s9
	v_add_co_u32_e32 v0, vcc, s8, v0
	v_addc_co_u32_e32 v1, vcc, v4, v1, vcc
	global_store_dwordx2 v[0:1], v[2:3], off
.LBB41_2:
	s_endpgm
	.section	.rodata,"a",@progbits
	.p2align	6, 0x0
	.amdhsa_kernel _ZN9rocsolver6v33100L9get_arrayI19rocblas_complex_numIdElEEvPPT_S5_lT0_
		.amdhsa_group_segment_fixed_size 0
		.amdhsa_private_segment_fixed_size 0
		.amdhsa_kernarg_size 288
		.amdhsa_user_sgpr_count 6
		.amdhsa_user_sgpr_private_segment_buffer 1
		.amdhsa_user_sgpr_dispatch_ptr 0
		.amdhsa_user_sgpr_queue_ptr 0
		.amdhsa_user_sgpr_kernarg_segment_ptr 1
		.amdhsa_user_sgpr_dispatch_id 0
		.amdhsa_user_sgpr_flat_scratch_init 0
		.amdhsa_user_sgpr_private_segment_size 0
		.amdhsa_uses_dynamic_stack 0
		.amdhsa_system_sgpr_private_segment_wavefront_offset 0
		.amdhsa_system_sgpr_workgroup_id_x 1
		.amdhsa_system_sgpr_workgroup_id_y 0
		.amdhsa_system_sgpr_workgroup_id_z 0
		.amdhsa_system_sgpr_workgroup_info 0
		.amdhsa_system_vgpr_workitem_id 0
		.amdhsa_next_free_vgpr 6
		.amdhsa_next_free_sgpr 16
		.amdhsa_reserve_vcc 1
		.amdhsa_reserve_flat_scratch 0
		.amdhsa_float_round_mode_32 0
		.amdhsa_float_round_mode_16_64 0
		.amdhsa_float_denorm_mode_32 3
		.amdhsa_float_denorm_mode_16_64 3
		.amdhsa_dx10_clamp 1
		.amdhsa_ieee_mode 1
		.amdhsa_fp16_overflow 0
		.amdhsa_exception_fp_ieee_invalid_op 0
		.amdhsa_exception_fp_denorm_src 0
		.amdhsa_exception_fp_ieee_div_zero 0
		.amdhsa_exception_fp_ieee_overflow 0
		.amdhsa_exception_fp_ieee_underflow 0
		.amdhsa_exception_fp_ieee_inexact 0
		.amdhsa_exception_int_div_zero 0
	.end_amdhsa_kernel
	.section	.text._ZN9rocsolver6v33100L9get_arrayI19rocblas_complex_numIdElEEvPPT_S5_lT0_,"axG",@progbits,_ZN9rocsolver6v33100L9get_arrayI19rocblas_complex_numIdElEEvPPT_S5_lT0_,comdat
.Lfunc_end41:
	.size	_ZN9rocsolver6v33100L9get_arrayI19rocblas_complex_numIdElEEvPPT_S5_lT0_, .Lfunc_end41-_ZN9rocsolver6v33100L9get_arrayI19rocblas_complex_numIdElEEvPPT_S5_lT0_
                                        ; -- End function
	.set _ZN9rocsolver6v33100L9get_arrayI19rocblas_complex_numIdElEEvPPT_S5_lT0_.num_vgpr, 6
	.set _ZN9rocsolver6v33100L9get_arrayI19rocblas_complex_numIdElEEvPPT_S5_lT0_.num_agpr, 0
	.set _ZN9rocsolver6v33100L9get_arrayI19rocblas_complex_numIdElEEvPPT_S5_lT0_.numbered_sgpr, 16
	.set _ZN9rocsolver6v33100L9get_arrayI19rocblas_complex_numIdElEEvPPT_S5_lT0_.num_named_barrier, 0
	.set _ZN9rocsolver6v33100L9get_arrayI19rocblas_complex_numIdElEEvPPT_S5_lT0_.private_seg_size, 0
	.set _ZN9rocsolver6v33100L9get_arrayI19rocblas_complex_numIdElEEvPPT_S5_lT0_.uses_vcc, 1
	.set _ZN9rocsolver6v33100L9get_arrayI19rocblas_complex_numIdElEEvPPT_S5_lT0_.uses_flat_scratch, 0
	.set _ZN9rocsolver6v33100L9get_arrayI19rocblas_complex_numIdElEEvPPT_S5_lT0_.has_dyn_sized_stack, 0
	.set _ZN9rocsolver6v33100L9get_arrayI19rocblas_complex_numIdElEEvPPT_S5_lT0_.has_recursion, 0
	.set _ZN9rocsolver6v33100L9get_arrayI19rocblas_complex_numIdElEEvPPT_S5_lT0_.has_indirect_call, 0
	.section	.AMDGPU.csdata,"",@progbits
; Kernel info:
; codeLenInByte = 140
; TotalNumSgprs: 20
; NumVgprs: 6
; ScratchSize: 0
; MemoryBound: 0
; FloatMode: 240
; IeeeMode: 1
; LDSByteSize: 0 bytes/workgroup (compile time only)
; SGPRBlocks: 2
; VGPRBlocks: 1
; NumSGPRsForWavesPerEU: 20
; NumVGPRsForWavesPerEU: 6
; Occupancy: 10
; WaveLimiterHint : 0
; COMPUTE_PGM_RSRC2:SCRATCH_EN: 0
; COMPUTE_PGM_RSRC2:USER_SGPR: 6
; COMPUTE_PGM_RSRC2:TRAP_HANDLER: 0
; COMPUTE_PGM_RSRC2:TGID_X_EN: 1
; COMPUTE_PGM_RSRC2:TGID_Y_EN: 0
; COMPUTE_PGM_RSRC2:TGID_Z_EN: 0
; COMPUTE_PGM_RSRC2:TIDIG_COMP_CNT: 0
	.section	.text._ZN9rocsolver6v33100L16mfma_gemm_kernelI19rocblas_complex_numIdElPKS3_PS3_PKS6_S8_EEv18rocblas_operation_S9_T0_SA_SA_T1_T2_lSA_SA_lT3_lSA_SA_lSB_T4_lSA_SA_l,"axG",@progbits,_ZN9rocsolver6v33100L16mfma_gemm_kernelI19rocblas_complex_numIdElPKS3_PS3_PKS6_S8_EEv18rocblas_operation_S9_T0_SA_SA_T1_T2_lSA_SA_lT3_lSA_SA_lSB_T4_lSA_SA_l,comdat
	.globl	_ZN9rocsolver6v33100L16mfma_gemm_kernelI19rocblas_complex_numIdElPKS3_PS3_PKS6_S8_EEv18rocblas_operation_S9_T0_SA_SA_T1_T2_lSA_SA_lT3_lSA_SA_lSB_T4_lSA_SA_l ; -- Begin function _ZN9rocsolver6v33100L16mfma_gemm_kernelI19rocblas_complex_numIdElPKS3_PS3_PKS6_S8_EEv18rocblas_operation_S9_T0_SA_SA_T1_T2_lSA_SA_lT3_lSA_SA_lSB_T4_lSA_SA_l
	.p2align	8
	.type	_ZN9rocsolver6v33100L16mfma_gemm_kernelI19rocblas_complex_numIdElPKS3_PS3_PKS6_S8_EEv18rocblas_operation_S9_T0_SA_SA_T1_T2_lSA_SA_lT3_lSA_SA_lSB_T4_lSA_SA_l,@function
_ZN9rocsolver6v33100L16mfma_gemm_kernelI19rocblas_complex_numIdElPKS3_PS3_PKS6_S8_EEv18rocblas_operation_S9_T0_SA_SA_T1_T2_lSA_SA_lT3_lSA_SA_lSB_T4_lSA_SA_l: ; @_ZN9rocsolver6v33100L16mfma_gemm_kernelI19rocblas_complex_numIdElPKS3_PS3_PKS6_S8_EEv18rocblas_operation_S9_T0_SA_SA_T1_T2_lSA_SA_lT3_lSA_SA_lSB_T4_lSA_SA_l
; %bb.0:
	s_endpgm
	.section	.rodata,"a",@progbits
	.p2align	6, 0x0
	.amdhsa_kernel _ZN9rocsolver6v33100L16mfma_gemm_kernelI19rocblas_complex_numIdElPKS3_PS3_PKS6_S8_EEv18rocblas_operation_S9_T0_SA_SA_T1_T2_lSA_SA_lT3_lSA_SA_lSB_T4_lSA_SA_l
		.amdhsa_group_segment_fixed_size 0
		.amdhsa_private_segment_fixed_size 0
		.amdhsa_kernarg_size 168
		.amdhsa_user_sgpr_count 6
		.amdhsa_user_sgpr_private_segment_buffer 1
		.amdhsa_user_sgpr_dispatch_ptr 0
		.amdhsa_user_sgpr_queue_ptr 0
		.amdhsa_user_sgpr_kernarg_segment_ptr 1
		.amdhsa_user_sgpr_dispatch_id 0
		.amdhsa_user_sgpr_flat_scratch_init 0
		.amdhsa_user_sgpr_private_segment_size 0
		.amdhsa_uses_dynamic_stack 0
		.amdhsa_system_sgpr_private_segment_wavefront_offset 0
		.amdhsa_system_sgpr_workgroup_id_x 1
		.amdhsa_system_sgpr_workgroup_id_y 0
		.amdhsa_system_sgpr_workgroup_id_z 0
		.amdhsa_system_sgpr_workgroup_info 0
		.amdhsa_system_vgpr_workitem_id 0
		.amdhsa_next_free_vgpr 1
		.amdhsa_next_free_sgpr 0
		.amdhsa_reserve_vcc 0
		.amdhsa_reserve_flat_scratch 0
		.amdhsa_float_round_mode_32 0
		.amdhsa_float_round_mode_16_64 0
		.amdhsa_float_denorm_mode_32 3
		.amdhsa_float_denorm_mode_16_64 3
		.amdhsa_dx10_clamp 1
		.amdhsa_ieee_mode 1
		.amdhsa_fp16_overflow 0
		.amdhsa_exception_fp_ieee_invalid_op 0
		.amdhsa_exception_fp_denorm_src 0
		.amdhsa_exception_fp_ieee_div_zero 0
		.amdhsa_exception_fp_ieee_overflow 0
		.amdhsa_exception_fp_ieee_underflow 0
		.amdhsa_exception_fp_ieee_inexact 0
		.amdhsa_exception_int_div_zero 0
	.end_amdhsa_kernel
	.section	.text._ZN9rocsolver6v33100L16mfma_gemm_kernelI19rocblas_complex_numIdElPKS3_PS3_PKS6_S8_EEv18rocblas_operation_S9_T0_SA_SA_T1_T2_lSA_SA_lT3_lSA_SA_lSB_T4_lSA_SA_l,"axG",@progbits,_ZN9rocsolver6v33100L16mfma_gemm_kernelI19rocblas_complex_numIdElPKS3_PS3_PKS6_S8_EEv18rocblas_operation_S9_T0_SA_SA_T1_T2_lSA_SA_lT3_lSA_SA_lSB_T4_lSA_SA_l,comdat
.Lfunc_end42:
	.size	_ZN9rocsolver6v33100L16mfma_gemm_kernelI19rocblas_complex_numIdElPKS3_PS3_PKS6_S8_EEv18rocblas_operation_S9_T0_SA_SA_T1_T2_lSA_SA_lT3_lSA_SA_lSB_T4_lSA_SA_l, .Lfunc_end42-_ZN9rocsolver6v33100L16mfma_gemm_kernelI19rocblas_complex_numIdElPKS3_PS3_PKS6_S8_EEv18rocblas_operation_S9_T0_SA_SA_T1_T2_lSA_SA_lT3_lSA_SA_lSB_T4_lSA_SA_l
                                        ; -- End function
	.set _ZN9rocsolver6v33100L16mfma_gemm_kernelI19rocblas_complex_numIdElPKS3_PS3_PKS6_S8_EEv18rocblas_operation_S9_T0_SA_SA_T1_T2_lSA_SA_lT3_lSA_SA_lSB_T4_lSA_SA_l.num_vgpr, 0
	.set _ZN9rocsolver6v33100L16mfma_gemm_kernelI19rocblas_complex_numIdElPKS3_PS3_PKS6_S8_EEv18rocblas_operation_S9_T0_SA_SA_T1_T2_lSA_SA_lT3_lSA_SA_lSB_T4_lSA_SA_l.num_agpr, 0
	.set _ZN9rocsolver6v33100L16mfma_gemm_kernelI19rocblas_complex_numIdElPKS3_PS3_PKS6_S8_EEv18rocblas_operation_S9_T0_SA_SA_T1_T2_lSA_SA_lT3_lSA_SA_lSB_T4_lSA_SA_l.numbered_sgpr, 0
	.set _ZN9rocsolver6v33100L16mfma_gemm_kernelI19rocblas_complex_numIdElPKS3_PS3_PKS6_S8_EEv18rocblas_operation_S9_T0_SA_SA_T1_T2_lSA_SA_lT3_lSA_SA_lSB_T4_lSA_SA_l.num_named_barrier, 0
	.set _ZN9rocsolver6v33100L16mfma_gemm_kernelI19rocblas_complex_numIdElPKS3_PS3_PKS6_S8_EEv18rocblas_operation_S9_T0_SA_SA_T1_T2_lSA_SA_lT3_lSA_SA_lSB_T4_lSA_SA_l.private_seg_size, 0
	.set _ZN9rocsolver6v33100L16mfma_gemm_kernelI19rocblas_complex_numIdElPKS3_PS3_PKS6_S8_EEv18rocblas_operation_S9_T0_SA_SA_T1_T2_lSA_SA_lT3_lSA_SA_lSB_T4_lSA_SA_l.uses_vcc, 0
	.set _ZN9rocsolver6v33100L16mfma_gemm_kernelI19rocblas_complex_numIdElPKS3_PS3_PKS6_S8_EEv18rocblas_operation_S9_T0_SA_SA_T1_T2_lSA_SA_lT3_lSA_SA_lSB_T4_lSA_SA_l.uses_flat_scratch, 0
	.set _ZN9rocsolver6v33100L16mfma_gemm_kernelI19rocblas_complex_numIdElPKS3_PS3_PKS6_S8_EEv18rocblas_operation_S9_T0_SA_SA_T1_T2_lSA_SA_lT3_lSA_SA_lSB_T4_lSA_SA_l.has_dyn_sized_stack, 0
	.set _ZN9rocsolver6v33100L16mfma_gemm_kernelI19rocblas_complex_numIdElPKS3_PS3_PKS6_S8_EEv18rocblas_operation_S9_T0_SA_SA_T1_T2_lSA_SA_lT3_lSA_SA_lSB_T4_lSA_SA_l.has_recursion, 0
	.set _ZN9rocsolver6v33100L16mfma_gemm_kernelI19rocblas_complex_numIdElPKS3_PS3_PKS6_S8_EEv18rocblas_operation_S9_T0_SA_SA_T1_T2_lSA_SA_lT3_lSA_SA_lSB_T4_lSA_SA_l.has_indirect_call, 0
	.section	.AMDGPU.csdata,"",@progbits
; Kernel info:
; codeLenInByte = 4
; TotalNumSgprs: 4
; NumVgprs: 0
; ScratchSize: 0
; MemoryBound: 0
; FloatMode: 240
; IeeeMode: 1
; LDSByteSize: 0 bytes/workgroup (compile time only)
; SGPRBlocks: 0
; VGPRBlocks: 0
; NumSGPRsForWavesPerEU: 4
; NumVGPRsForWavesPerEU: 1
; Occupancy: 10
; WaveLimiterHint : 0
; COMPUTE_PGM_RSRC2:SCRATCH_EN: 0
; COMPUTE_PGM_RSRC2:USER_SGPR: 6
; COMPUTE_PGM_RSRC2:TRAP_HANDLER: 0
; COMPUTE_PGM_RSRC2:TGID_X_EN: 1
; COMPUTE_PGM_RSRC2:TGID_Y_EN: 0
; COMPUTE_PGM_RSRC2:TGID_Z_EN: 0
; COMPUTE_PGM_RSRC2:TIDIG_COMP_CNT: 0
	.section	.text._ZN9rocsolver6v33100L16mfma_gemm_kernelI19rocblas_complex_numIdElS3_PS3_PKS4_S6_EEv18rocblas_operation_S7_T0_S8_S8_T1_T2_lS8_S8_lT3_lS8_S8_lS9_T4_lS8_S8_l,"axG",@progbits,_ZN9rocsolver6v33100L16mfma_gemm_kernelI19rocblas_complex_numIdElS3_PS3_PKS4_S6_EEv18rocblas_operation_S7_T0_S8_S8_T1_T2_lS8_S8_lT3_lS8_S8_lS9_T4_lS8_S8_l,comdat
	.globl	_ZN9rocsolver6v33100L16mfma_gemm_kernelI19rocblas_complex_numIdElS3_PS3_PKS4_S6_EEv18rocblas_operation_S7_T0_S8_S8_T1_T2_lS8_S8_lT3_lS8_S8_lS9_T4_lS8_S8_l ; -- Begin function _ZN9rocsolver6v33100L16mfma_gemm_kernelI19rocblas_complex_numIdElS3_PS3_PKS4_S6_EEv18rocblas_operation_S7_T0_S8_S8_T1_T2_lS8_S8_lT3_lS8_S8_lS9_T4_lS8_S8_l
	.p2align	8
	.type	_ZN9rocsolver6v33100L16mfma_gemm_kernelI19rocblas_complex_numIdElS3_PS3_PKS4_S6_EEv18rocblas_operation_S7_T0_S8_S8_T1_T2_lS8_S8_lT3_lS8_S8_lS9_T4_lS8_S8_l,@function
_ZN9rocsolver6v33100L16mfma_gemm_kernelI19rocblas_complex_numIdElS3_PS3_PKS4_S6_EEv18rocblas_operation_S7_T0_S8_S8_T1_T2_lS8_S8_lT3_lS8_S8_lS9_T4_lS8_S8_l: ; @_ZN9rocsolver6v33100L16mfma_gemm_kernelI19rocblas_complex_numIdElS3_PS3_PKS4_S6_EEv18rocblas_operation_S7_T0_S8_S8_T1_T2_lS8_S8_lT3_lS8_S8_lS9_T4_lS8_S8_l
; %bb.0:
	s_endpgm
	.section	.rodata,"a",@progbits
	.p2align	6, 0x0
	.amdhsa_kernel _ZN9rocsolver6v33100L16mfma_gemm_kernelI19rocblas_complex_numIdElS3_PS3_PKS4_S6_EEv18rocblas_operation_S7_T0_S8_S8_T1_T2_lS8_S8_lT3_lS8_S8_lS9_T4_lS8_S8_l
		.amdhsa_group_segment_fixed_size 0
		.amdhsa_private_segment_fixed_size 0
		.amdhsa_kernarg_size 184
		.amdhsa_user_sgpr_count 6
		.amdhsa_user_sgpr_private_segment_buffer 1
		.amdhsa_user_sgpr_dispatch_ptr 0
		.amdhsa_user_sgpr_queue_ptr 0
		.amdhsa_user_sgpr_kernarg_segment_ptr 1
		.amdhsa_user_sgpr_dispatch_id 0
		.amdhsa_user_sgpr_flat_scratch_init 0
		.amdhsa_user_sgpr_private_segment_size 0
		.amdhsa_uses_dynamic_stack 0
		.amdhsa_system_sgpr_private_segment_wavefront_offset 0
		.amdhsa_system_sgpr_workgroup_id_x 1
		.amdhsa_system_sgpr_workgroup_id_y 0
		.amdhsa_system_sgpr_workgroup_id_z 0
		.amdhsa_system_sgpr_workgroup_info 0
		.amdhsa_system_vgpr_workitem_id 0
		.amdhsa_next_free_vgpr 1
		.amdhsa_next_free_sgpr 0
		.amdhsa_reserve_vcc 0
		.amdhsa_reserve_flat_scratch 0
		.amdhsa_float_round_mode_32 0
		.amdhsa_float_round_mode_16_64 0
		.amdhsa_float_denorm_mode_32 3
		.amdhsa_float_denorm_mode_16_64 3
		.amdhsa_dx10_clamp 1
		.amdhsa_ieee_mode 1
		.amdhsa_fp16_overflow 0
		.amdhsa_exception_fp_ieee_invalid_op 0
		.amdhsa_exception_fp_denorm_src 0
		.amdhsa_exception_fp_ieee_div_zero 0
		.amdhsa_exception_fp_ieee_overflow 0
		.amdhsa_exception_fp_ieee_underflow 0
		.amdhsa_exception_fp_ieee_inexact 0
		.amdhsa_exception_int_div_zero 0
	.end_amdhsa_kernel
	.section	.text._ZN9rocsolver6v33100L16mfma_gemm_kernelI19rocblas_complex_numIdElS3_PS3_PKS4_S6_EEv18rocblas_operation_S7_T0_S8_S8_T1_T2_lS8_S8_lT3_lS8_S8_lS9_T4_lS8_S8_l,"axG",@progbits,_ZN9rocsolver6v33100L16mfma_gemm_kernelI19rocblas_complex_numIdElS3_PS3_PKS4_S6_EEv18rocblas_operation_S7_T0_S8_S8_T1_T2_lS8_S8_lT3_lS8_S8_lS9_T4_lS8_S8_l,comdat
.Lfunc_end43:
	.size	_ZN9rocsolver6v33100L16mfma_gemm_kernelI19rocblas_complex_numIdElS3_PS3_PKS4_S6_EEv18rocblas_operation_S7_T0_S8_S8_T1_T2_lS8_S8_lT3_lS8_S8_lS9_T4_lS8_S8_l, .Lfunc_end43-_ZN9rocsolver6v33100L16mfma_gemm_kernelI19rocblas_complex_numIdElS3_PS3_PKS4_S6_EEv18rocblas_operation_S7_T0_S8_S8_T1_T2_lS8_S8_lT3_lS8_S8_lS9_T4_lS8_S8_l
                                        ; -- End function
	.set _ZN9rocsolver6v33100L16mfma_gemm_kernelI19rocblas_complex_numIdElS3_PS3_PKS4_S6_EEv18rocblas_operation_S7_T0_S8_S8_T1_T2_lS8_S8_lT3_lS8_S8_lS9_T4_lS8_S8_l.num_vgpr, 0
	.set _ZN9rocsolver6v33100L16mfma_gemm_kernelI19rocblas_complex_numIdElS3_PS3_PKS4_S6_EEv18rocblas_operation_S7_T0_S8_S8_T1_T2_lS8_S8_lT3_lS8_S8_lS9_T4_lS8_S8_l.num_agpr, 0
	.set _ZN9rocsolver6v33100L16mfma_gemm_kernelI19rocblas_complex_numIdElS3_PS3_PKS4_S6_EEv18rocblas_operation_S7_T0_S8_S8_T1_T2_lS8_S8_lT3_lS8_S8_lS9_T4_lS8_S8_l.numbered_sgpr, 0
	.set _ZN9rocsolver6v33100L16mfma_gemm_kernelI19rocblas_complex_numIdElS3_PS3_PKS4_S6_EEv18rocblas_operation_S7_T0_S8_S8_T1_T2_lS8_S8_lT3_lS8_S8_lS9_T4_lS8_S8_l.num_named_barrier, 0
	.set _ZN9rocsolver6v33100L16mfma_gemm_kernelI19rocblas_complex_numIdElS3_PS3_PKS4_S6_EEv18rocblas_operation_S7_T0_S8_S8_T1_T2_lS8_S8_lT3_lS8_S8_lS9_T4_lS8_S8_l.private_seg_size, 0
	.set _ZN9rocsolver6v33100L16mfma_gemm_kernelI19rocblas_complex_numIdElS3_PS3_PKS4_S6_EEv18rocblas_operation_S7_T0_S8_S8_T1_T2_lS8_S8_lT3_lS8_S8_lS9_T4_lS8_S8_l.uses_vcc, 0
	.set _ZN9rocsolver6v33100L16mfma_gemm_kernelI19rocblas_complex_numIdElS3_PS3_PKS4_S6_EEv18rocblas_operation_S7_T0_S8_S8_T1_T2_lS8_S8_lT3_lS8_S8_lS9_T4_lS8_S8_l.uses_flat_scratch, 0
	.set _ZN9rocsolver6v33100L16mfma_gemm_kernelI19rocblas_complex_numIdElS3_PS3_PKS4_S6_EEv18rocblas_operation_S7_T0_S8_S8_T1_T2_lS8_S8_lT3_lS8_S8_lS9_T4_lS8_S8_l.has_dyn_sized_stack, 0
	.set _ZN9rocsolver6v33100L16mfma_gemm_kernelI19rocblas_complex_numIdElS3_PS3_PKS4_S6_EEv18rocblas_operation_S7_T0_S8_S8_T1_T2_lS8_S8_lT3_lS8_S8_lS9_T4_lS8_S8_l.has_recursion, 0
	.set _ZN9rocsolver6v33100L16mfma_gemm_kernelI19rocblas_complex_numIdElS3_PS3_PKS4_S6_EEv18rocblas_operation_S7_T0_S8_S8_T1_T2_lS8_S8_lT3_lS8_S8_lS9_T4_lS8_S8_l.has_indirect_call, 0
	.section	.AMDGPU.csdata,"",@progbits
; Kernel info:
; codeLenInByte = 4
; TotalNumSgprs: 4
; NumVgprs: 0
; ScratchSize: 0
; MemoryBound: 0
; FloatMode: 240
; IeeeMode: 1
; LDSByteSize: 0 bytes/workgroup (compile time only)
; SGPRBlocks: 0
; VGPRBlocks: 0
; NumSGPRsForWavesPerEU: 4
; NumVGPRsForWavesPerEU: 1
; Occupancy: 10
; WaveLimiterHint : 0
; COMPUTE_PGM_RSRC2:SCRATCH_EN: 0
; COMPUTE_PGM_RSRC2:USER_SGPR: 6
; COMPUTE_PGM_RSRC2:TRAP_HANDLER: 0
; COMPUTE_PGM_RSRC2:TGID_X_EN: 1
; COMPUTE_PGM_RSRC2:TGID_Y_EN: 0
; COMPUTE_PGM_RSRC2:TGID_Z_EN: 0
; COMPUTE_PGM_RSRC2:TIDIG_COMP_CNT: 0
	.section	.text._ZN9rocsolver6v33100L11gemm_kernelI19rocblas_complex_numIdElPKS3_PS3_PKS6_S8_EEvT0_S9_S9_T1_bT2_lS9_S9_lbT3_lS9_S9_lSA_T4_lS9_S9_l,"axG",@progbits,_ZN9rocsolver6v33100L11gemm_kernelI19rocblas_complex_numIdElPKS3_PS3_PKS6_S8_EEvT0_S9_S9_T1_bT2_lS9_S9_lbT3_lS9_S9_lSA_T4_lS9_S9_l,comdat
	.globl	_ZN9rocsolver6v33100L11gemm_kernelI19rocblas_complex_numIdElPKS3_PS3_PKS6_S8_EEvT0_S9_S9_T1_bT2_lS9_S9_lbT3_lS9_S9_lSA_T4_lS9_S9_l ; -- Begin function _ZN9rocsolver6v33100L11gemm_kernelI19rocblas_complex_numIdElPKS3_PS3_PKS6_S8_EEvT0_S9_S9_T1_bT2_lS9_S9_lbT3_lS9_S9_lSA_T4_lS9_S9_l
	.p2align	8
	.type	_ZN9rocsolver6v33100L11gemm_kernelI19rocblas_complex_numIdElPKS3_PS3_PKS6_S8_EEvT0_S9_S9_T1_bT2_lS9_S9_lbT3_lS9_S9_lSA_T4_lS9_S9_l,@function
_ZN9rocsolver6v33100L11gemm_kernelI19rocblas_complex_numIdElPKS3_PS3_PKS6_S8_EEvT0_S9_S9_T1_bT2_lS9_S9_lbT3_lS9_S9_lSA_T4_lS9_S9_l: ; @_ZN9rocsolver6v33100L11gemm_kernelI19rocblas_complex_numIdElPKS3_PS3_PKS6_S8_EEvT0_S9_S9_T1_bT2_lS9_S9_lbT3_lS9_S9_lSA_T4_lS9_S9_l
; %bb.0:
	s_load_dword s0, s[4:5], 0xbc
	s_load_dwordx8 s[12:19], s[4:5], 0x0
	v_mov_b32_e32 v2, v0
	v_mov_b32_e32 v3, 0
	;; [unrolled: 1-line block ×3, first 2 shown]
	s_waitcnt lgkmcnt(0)
	s_lshr_b32 s2, s0, 16
	s_and_b32 s0, s0, 0xffff
	v_mad_u64_u32 v[4:5], s[0:1], s0, v0, v[2:3]
	v_mov_b32_e32 v2, v3
	v_mov_b32_e32 v0, s7
	v_mad_u64_u32 v[0:1], s[0:1], s2, v0, v[1:2]
	v_cmp_gt_i64_e32 vcc, s[12:13], v[4:5]
	v_cmp_gt_i64_e64 s[0:1], s[14:15], v[0:1]
	s_and_b64 s[0:1], vcc, s[0:1]
	s_and_saveexec_b64 s[2:3], s[0:1]
	s_cbranch_execz .LBB44_6
; %bb.1:
	s_load_dwordx8 s[20:27], s[4:5], 0x80
	s_load_dwordx2 s[10:11], s[4:5], 0xa0
	s_mov_b32 s9, 0
	s_lshl_b64 s[0:1], s[8:9], 3
	s_waitcnt lgkmcnt(0)
	s_add_u32 s2, s22, s0
	s_addc_u32 s3, s23, s1
	s_load_dwordx2 s[12:13], s[2:3], 0x0
	v_cmp_lt_i64_e64 s[2:3], s[16:17], 1
	s_and_b64 vcc, exec, s[2:3]
	s_cbranch_vccnz .LBB44_4
; %bb.2:
	s_load_dwordx8 s[44:51], s[4:5], 0x58
	s_load_dword s6, s[4:5], 0x20
	s_load_dwordx8 s[36:43], s[4:5], 0x28
	s_load_dwordx2 s[14:15], s[4:5], 0x48
	s_load_dword s7, s[4:5], 0x50
	s_waitcnt lgkmcnt(0)
	s_add_u32 s0, s44, s0
	s_addc_u32 s1, s45, s1
	s_load_dwordx2 s[2:3], s[0:1], 0x0
	v_mul_lo_u32 v6, v1, s50
	v_mul_lo_u32 v7, v0, s51
	v_mad_u64_u32 v[2:3], s[4:5], v0, s50, 0
	s_bitcmp1_b32 s6, 0
	s_cselect_b64 vcc, -1, 0
	s_bitcmp1_b32 s7, 0
	s_cselect_b64 s[0:1], -1, 0
	s_lshl_b64 s[4:5], s[46:47], 4
	s_waitcnt lgkmcnt(0)
	s_add_u32 s4, s2, s4
	v_add3_u32 v3, v3, v7, v6
	s_addc_u32 s2, s3, s5
	v_lshlrev_b64 v[2:3], 4, v[2:3]
	v_mov_b32_e32 v9, s2
	v_mad_u64_u32 v[6:7], s[2:3], s40, v4, 0
	v_add_co_u32_e64 v8, s[2:3], s4, v2
	v_addc_co_u32_e64 v9, s[2:3], v9, v3, s[2:3]
	v_mul_lo_u32 v10, s41, v4
	v_mul_lo_u32 v11, s40, v5
	s_mul_i32 s2, s15, s8
	s_mul_hi_u32 s3, s14, s8
	s_add_i32 s3, s3, s2
	s_mul_i32 s2, s14, s8
	s_lshl_b64 s[6:7], s[48:49], 4
	s_lshl_b64 s[2:3], s[2:3], 4
	;; [unrolled: 1-line block ×3, first 2 shown]
	s_add_u32 s4, s36, s4
	v_add3_u32 v7, v7, v11, v10
	s_addc_u32 s5, s37, s5
	v_lshlrev_b64 v[2:3], 4, v[6:7]
	s_add_u32 s2, s4, s2
	s_addc_u32 s3, s5, s3
	v_mov_b32_e32 v6, s3
	v_add_co_u32_e64 v2, s[2:3], s2, v2
	v_addc_co_u32_e64 v3, s[2:3], v6, v3, s[2:3]
	v_add_co_u32_e64 v10, s[2:3], 8, v2
	v_addc_co_u32_e64 v11, s[2:3], 0, v3, s[2:3]
	s_lshl_b64 s[8:9], s[42:43], 4
	v_mov_b32_e32 v2, 0
	v_mov_b32_e32 v6, 0
	;; [unrolled: 1-line block ×6, first 2 shown]
.LBB44_3:                               ; =>This Inner Loop Header: Depth=1
	global_load_dwordx4 v[14:17], v[10:11], off offset:-8
	flat_load_dwordx4 v[18:21], v[8:9]
	s_add_u32 s16, s16, -1
	v_add_co_u32_e64 v10, s[2:3], s8, v10
	v_add_co_u32_e64 v8, s[4:5], s6, v8
	s_addc_u32 s17, s17, -1
	v_addc_co_u32_e64 v9, s[4:5], v9, v12, s[4:5]
	s_cmp_eq_u64 s[16:17], 0
	v_addc_co_u32_e64 v11, s[2:3], v11, v13, s[2:3]
	s_waitcnt vmcnt(0)
	v_xor_b32_e32 v22, 0x80000000, v17
	s_waitcnt lgkmcnt(0)
	v_xor_b32_e32 v23, 0x80000000, v21
	v_cndmask_b32_e32 v17, v17, v22, vcc
	v_cndmask_b32_e64 v21, v21, v23, s[0:1]
	v_mul_f64 v[22:23], v[16:17], v[20:21]
	v_mul_f64 v[16:17], v[16:17], v[18:19]
	v_fma_f64 v[18:19], v[14:15], v[18:19], -v[22:23]
	v_fma_f64 v[14:15], v[14:15], v[20:21], v[16:17]
	v_add_f64 v[6:7], v[6:7], v[18:19]
	v_add_f64 v[2:3], v[2:3], v[14:15]
	s_cbranch_scc0 .LBB44_3
	s_branch .LBB44_5
.LBB44_4:
	v_mov_b32_e32 v2, 0
	v_mov_b32_e32 v6, 0
	;; [unrolled: 1-line block ×4, first 2 shown]
.LBB44_5:
	v_mul_lo_u32 v8, v5, s26
	v_mul_lo_u32 v9, v4, s27
	v_mad_u64_u32 v[4:5], s[14:15], v4, s26, 0
	v_mul_lo_u32 v10, v1, s10
	v_mul_lo_u32 v11, v0, s11
	v_mad_u64_u32 v[0:1], s[10:11], v0, s10, 0
	s_lshl_b64 s[8:9], s[24:25], 4
	v_add3_u32 v5, v5, v9, v8
	s_waitcnt lgkmcnt(0)
	s_add_u32 s8, s12, s8
	v_lshlrev_b64 v[4:5], 4, v[4:5]
	s_addc_u32 s9, s13, s9
	v_add3_u32 v1, v1, v11, v10
	v_mov_b32_e32 v8, s9
	v_add_co_u32_e32 v4, vcc, s8, v4
	v_lshlrev_b64 v[0:1], 4, v[0:1]
	v_addc_co_u32_e32 v5, vcc, v8, v5, vcc
	v_add_co_u32_e32 v4, vcc, v4, v0
	v_addc_co_u32_e32 v5, vcc, v5, v1, vcc
	s_load_dwordx4 s[4:7], s[18:19], 0x0
	s_load_dwordx4 s[0:3], s[20:21], 0x0
	flat_load_dwordx4 v[8:11], v[4:5]
	s_waitcnt lgkmcnt(0)
	v_mul_f64 v[0:1], s[6:7], v[2:3]
	v_mul_f64 v[2:3], s[4:5], v[2:3]
	v_fma_f64 v[0:1], s[4:5], v[6:7], -v[0:1]
	v_fma_f64 v[2:3], s[6:7], v[6:7], v[2:3]
	s_waitcnt vmcnt(0)
	v_mul_f64 v[12:13], s[2:3], v[10:11]
	v_mul_f64 v[10:11], s[0:1], v[10:11]
	v_fma_f64 v[6:7], s[0:1], v[8:9], -v[12:13]
	v_fma_f64 v[8:9], s[2:3], v[8:9], v[10:11]
	v_add_f64 v[0:1], v[0:1], v[6:7]
	v_add_f64 v[2:3], v[2:3], v[8:9]
	flat_store_dwordx4 v[4:5], v[0:3]
.LBB44_6:
	s_endpgm
	.section	.rodata,"a",@progbits
	.p2align	6, 0x0
	.amdhsa_kernel _ZN9rocsolver6v33100L11gemm_kernelI19rocblas_complex_numIdElPKS3_PS3_PKS6_S8_EEvT0_S9_S9_T1_bT2_lS9_S9_lbT3_lS9_S9_lSA_T4_lS9_S9_l
		.amdhsa_group_segment_fixed_size 0
		.amdhsa_private_segment_fixed_size 0
		.amdhsa_kernarg_size 432
		.amdhsa_user_sgpr_count 6
		.amdhsa_user_sgpr_private_segment_buffer 1
		.amdhsa_user_sgpr_dispatch_ptr 0
		.amdhsa_user_sgpr_queue_ptr 0
		.amdhsa_user_sgpr_kernarg_segment_ptr 1
		.amdhsa_user_sgpr_dispatch_id 0
		.amdhsa_user_sgpr_flat_scratch_init 0
		.amdhsa_user_sgpr_private_segment_size 0
		.amdhsa_uses_dynamic_stack 0
		.amdhsa_system_sgpr_private_segment_wavefront_offset 0
		.amdhsa_system_sgpr_workgroup_id_x 1
		.amdhsa_system_sgpr_workgroup_id_y 1
		.amdhsa_system_sgpr_workgroup_id_z 1
		.amdhsa_system_sgpr_workgroup_info 0
		.amdhsa_system_vgpr_workitem_id 1
		.amdhsa_next_free_vgpr 24
		.amdhsa_next_free_sgpr 52
		.amdhsa_reserve_vcc 1
		.amdhsa_reserve_flat_scratch 0
		.amdhsa_float_round_mode_32 0
		.amdhsa_float_round_mode_16_64 0
		.amdhsa_float_denorm_mode_32 3
		.amdhsa_float_denorm_mode_16_64 3
		.amdhsa_dx10_clamp 1
		.amdhsa_ieee_mode 1
		.amdhsa_fp16_overflow 0
		.amdhsa_exception_fp_ieee_invalid_op 0
		.amdhsa_exception_fp_denorm_src 0
		.amdhsa_exception_fp_ieee_div_zero 0
		.amdhsa_exception_fp_ieee_overflow 0
		.amdhsa_exception_fp_ieee_underflow 0
		.amdhsa_exception_fp_ieee_inexact 0
		.amdhsa_exception_int_div_zero 0
	.end_amdhsa_kernel
	.section	.text._ZN9rocsolver6v33100L11gemm_kernelI19rocblas_complex_numIdElPKS3_PS3_PKS6_S8_EEvT0_S9_S9_T1_bT2_lS9_S9_lbT3_lS9_S9_lSA_T4_lS9_S9_l,"axG",@progbits,_ZN9rocsolver6v33100L11gemm_kernelI19rocblas_complex_numIdElPKS3_PS3_PKS6_S8_EEvT0_S9_S9_T1_bT2_lS9_S9_lbT3_lS9_S9_lSA_T4_lS9_S9_l,comdat
.Lfunc_end44:
	.size	_ZN9rocsolver6v33100L11gemm_kernelI19rocblas_complex_numIdElPKS3_PS3_PKS6_S8_EEvT0_S9_S9_T1_bT2_lS9_S9_lbT3_lS9_S9_lSA_T4_lS9_S9_l, .Lfunc_end44-_ZN9rocsolver6v33100L11gemm_kernelI19rocblas_complex_numIdElPKS3_PS3_PKS6_S8_EEvT0_S9_S9_T1_bT2_lS9_S9_lbT3_lS9_S9_lSA_T4_lS9_S9_l
                                        ; -- End function
	.set _ZN9rocsolver6v33100L11gemm_kernelI19rocblas_complex_numIdElPKS3_PS3_PKS6_S8_EEvT0_S9_S9_T1_bT2_lS9_S9_lbT3_lS9_S9_lSA_T4_lS9_S9_l.num_vgpr, 24
	.set _ZN9rocsolver6v33100L11gemm_kernelI19rocblas_complex_numIdElPKS3_PS3_PKS6_S8_EEvT0_S9_S9_T1_bT2_lS9_S9_lbT3_lS9_S9_lSA_T4_lS9_S9_l.num_agpr, 0
	.set _ZN9rocsolver6v33100L11gemm_kernelI19rocblas_complex_numIdElPKS3_PS3_PKS6_S8_EEvT0_S9_S9_T1_bT2_lS9_S9_lbT3_lS9_S9_lSA_T4_lS9_S9_l.numbered_sgpr, 52
	.set _ZN9rocsolver6v33100L11gemm_kernelI19rocblas_complex_numIdElPKS3_PS3_PKS6_S8_EEvT0_S9_S9_T1_bT2_lS9_S9_lbT3_lS9_S9_lSA_T4_lS9_S9_l.num_named_barrier, 0
	.set _ZN9rocsolver6v33100L11gemm_kernelI19rocblas_complex_numIdElPKS3_PS3_PKS6_S8_EEvT0_S9_S9_T1_bT2_lS9_S9_lbT3_lS9_S9_lSA_T4_lS9_S9_l.private_seg_size, 0
	.set _ZN9rocsolver6v33100L11gemm_kernelI19rocblas_complex_numIdElPKS3_PS3_PKS6_S8_EEvT0_S9_S9_T1_bT2_lS9_S9_lbT3_lS9_S9_lSA_T4_lS9_S9_l.uses_vcc, 1
	.set _ZN9rocsolver6v33100L11gemm_kernelI19rocblas_complex_numIdElPKS3_PS3_PKS6_S8_EEvT0_S9_S9_T1_bT2_lS9_S9_lbT3_lS9_S9_lSA_T4_lS9_S9_l.uses_flat_scratch, 0
	.set _ZN9rocsolver6v33100L11gemm_kernelI19rocblas_complex_numIdElPKS3_PS3_PKS6_S8_EEvT0_S9_S9_T1_bT2_lS9_S9_lbT3_lS9_S9_lSA_T4_lS9_S9_l.has_dyn_sized_stack, 0
	.set _ZN9rocsolver6v33100L11gemm_kernelI19rocblas_complex_numIdElPKS3_PS3_PKS6_S8_EEvT0_S9_S9_T1_bT2_lS9_S9_lbT3_lS9_S9_lSA_T4_lS9_S9_l.has_recursion, 0
	.set _ZN9rocsolver6v33100L11gemm_kernelI19rocblas_complex_numIdElPKS3_PS3_PKS6_S8_EEvT0_S9_S9_T1_bT2_lS9_S9_lbT3_lS9_S9_lSA_T4_lS9_S9_l.has_indirect_call, 0
	.section	.AMDGPU.csdata,"",@progbits
; Kernel info:
; codeLenInByte = 860
; TotalNumSgprs: 56
; NumVgprs: 24
; ScratchSize: 0
; MemoryBound: 0
; FloatMode: 240
; IeeeMode: 1
; LDSByteSize: 0 bytes/workgroup (compile time only)
; SGPRBlocks: 6
; VGPRBlocks: 5
; NumSGPRsForWavesPerEU: 56
; NumVGPRsForWavesPerEU: 24
; Occupancy: 10
; WaveLimiterHint : 1
; COMPUTE_PGM_RSRC2:SCRATCH_EN: 0
; COMPUTE_PGM_RSRC2:USER_SGPR: 6
; COMPUTE_PGM_RSRC2:TRAP_HANDLER: 0
; COMPUTE_PGM_RSRC2:TGID_X_EN: 1
; COMPUTE_PGM_RSRC2:TGID_Y_EN: 1
; COMPUTE_PGM_RSRC2:TGID_Z_EN: 1
; COMPUTE_PGM_RSRC2:TIDIG_COMP_CNT: 1
	.section	.text._ZN9rocsolver6v33100L11gemm_kernelI19rocblas_complex_numIdElS3_PS3_PKS4_S6_EEvT0_S7_S7_T1_bT2_lS7_S7_lbT3_lS7_S7_lS8_T4_lS7_S7_l,"axG",@progbits,_ZN9rocsolver6v33100L11gemm_kernelI19rocblas_complex_numIdElS3_PS3_PKS4_S6_EEvT0_S7_S7_T1_bT2_lS7_S7_lbT3_lS7_S7_lS8_T4_lS7_S7_l,comdat
	.globl	_ZN9rocsolver6v33100L11gemm_kernelI19rocblas_complex_numIdElS3_PS3_PKS4_S6_EEvT0_S7_S7_T1_bT2_lS7_S7_lbT3_lS7_S7_lS8_T4_lS7_S7_l ; -- Begin function _ZN9rocsolver6v33100L11gemm_kernelI19rocblas_complex_numIdElS3_PS3_PKS4_S6_EEvT0_S7_S7_T1_bT2_lS7_S7_lbT3_lS7_S7_lS8_T4_lS7_S7_l
	.p2align	8
	.type	_ZN9rocsolver6v33100L11gemm_kernelI19rocblas_complex_numIdElS3_PS3_PKS4_S6_EEvT0_S7_S7_T1_bT2_lS7_S7_lbT3_lS7_S7_lS8_T4_lS7_S7_l,@function
_ZN9rocsolver6v33100L11gemm_kernelI19rocblas_complex_numIdElS3_PS3_PKS4_S6_EEvT0_S7_S7_T1_bT2_lS7_S7_lbT3_lS7_S7_lS8_T4_lS7_S7_l: ; @_ZN9rocsolver6v33100L11gemm_kernelI19rocblas_complex_numIdElS3_PS3_PKS4_S6_EEvT0_S7_S7_T1_bT2_lS7_S7_lbT3_lS7_S7_lS8_T4_lS7_S7_l
; %bb.0:
	s_load_dword s0, s[4:5], 0xcc
	s_load_dwordx8 s[12:19], s[4:5], 0x0
	v_mov_b32_e32 v2, v0
	v_mov_b32_e32 v3, 0
	v_mov_b32_e32 v0, s6
	s_waitcnt lgkmcnt(0)
	s_lshr_b32 s2, s0, 16
	s_and_b32 s0, s0, 0xffff
	v_mad_u64_u32 v[4:5], s[0:1], s0, v0, v[2:3]
	v_mov_b32_e32 v2, v3
	v_mov_b32_e32 v0, s7
	v_mad_u64_u32 v[0:1], s[0:1], s2, v0, v[1:2]
	v_cmp_gt_i64_e32 vcc, s[12:13], v[4:5]
	v_cmp_gt_i64_e64 s[0:1], s[14:15], v[0:1]
	s_and_b64 s[0:1], vcc, s[0:1]
	s_and_saveexec_b64 s[2:3], s[0:1]
	s_cbranch_execz .LBB45_6
; %bb.1:
	s_load_dwordx8 s[20:27], s[4:5], 0x88
	s_load_dwordx2 s[6:7], s[4:5], 0x20
	s_load_dwordx4 s[12:15], s[4:5], 0xa8
	s_mov_b32 s9, 0
	s_lshl_b64 s[0:1], s[8:9], 3
	s_waitcnt lgkmcnt(0)
	s_add_u32 s2, s24, s0
	s_addc_u32 s3, s25, s1
	s_load_dwordx2 s[10:11], s[2:3], 0x0
	v_cmp_lt_i64_e64 s[2:3], s[16:17], 1
	s_and_b64 vcc, exec, s[2:3]
	s_cbranch_vccnz .LBB45_4
; %bb.2:
	s_load_dwordx8 s[44:51], s[4:5], 0x60
	s_load_dword s9, s[4:5], 0x28
	s_load_dwordx8 s[36:43], s[4:5], 0x30
	s_load_dwordx2 s[28:29], s[4:5], 0x50
	s_load_dword s24, s[4:5], 0x58
	s_waitcnt lgkmcnt(0)
	s_add_u32 s0, s44, s0
	s_addc_u32 s1, s45, s1
	s_load_dwordx2 s[2:3], s[0:1], 0x0
	v_mul_lo_u32 v6, v1, s50
	v_mul_lo_u32 v7, v0, s51
	v_mad_u64_u32 v[2:3], s[4:5], v0, s50, 0
	s_bitcmp1_b32 s9, 0
	s_cselect_b64 vcc, -1, 0
	s_bitcmp1_b32 s24, 0
	s_cselect_b64 s[0:1], -1, 0
	s_lshl_b64 s[4:5], s[46:47], 4
	s_waitcnt lgkmcnt(0)
	s_add_u32 s4, s2, s4
	v_add3_u32 v3, v3, v7, v6
	s_addc_u32 s2, s3, s5
	v_lshlrev_b64 v[2:3], 4, v[2:3]
	v_mov_b32_e32 v9, s2
	v_mad_u64_u32 v[6:7], s[2:3], s40, v4, 0
	v_add_co_u32_e64 v8, s[2:3], s4, v2
	v_addc_co_u32_e64 v9, s[2:3], v9, v3, s[2:3]
	v_mul_lo_u32 v10, s41, v4
	v_mul_lo_u32 v11, s40, v5
	s_mul_i32 s2, s29, s8
	s_mul_hi_u32 s3, s28, s8
	s_add_i32 s3, s3, s2
	s_mul_i32 s2, s28, s8
	s_lshl_b64 s[24:25], s[48:49], 4
	s_lshl_b64 s[2:3], s[2:3], 4
	;; [unrolled: 1-line block ×3, first 2 shown]
	s_add_u32 s4, s36, s4
	v_add3_u32 v7, v7, v11, v10
	s_addc_u32 s5, s37, s5
	v_lshlrev_b64 v[2:3], 4, v[6:7]
	s_add_u32 s2, s4, s2
	s_addc_u32 s3, s5, s3
	v_mov_b32_e32 v6, s3
	v_add_co_u32_e64 v2, s[2:3], s2, v2
	v_addc_co_u32_e64 v3, s[2:3], v6, v3, s[2:3]
	v_add_co_u32_e64 v10, s[2:3], 8, v2
	v_addc_co_u32_e64 v11, s[2:3], 0, v3, s[2:3]
	s_lshl_b64 s[8:9], s[42:43], 4
	v_mov_b32_e32 v2, 0
	v_mov_b32_e32 v6, 0
	;; [unrolled: 1-line block ×6, first 2 shown]
.LBB45_3:                               ; =>This Inner Loop Header: Depth=1
	global_load_dwordx4 v[14:17], v[10:11], off offset:-8
	flat_load_dwordx4 v[18:21], v[8:9]
	s_add_u32 s16, s16, -1
	v_add_co_u32_e64 v10, s[2:3], s8, v10
	v_add_co_u32_e64 v8, s[4:5], s24, v8
	s_addc_u32 s17, s17, -1
	v_addc_co_u32_e64 v9, s[4:5], v9, v12, s[4:5]
	s_cmp_eq_u64 s[16:17], 0
	v_addc_co_u32_e64 v11, s[2:3], v11, v13, s[2:3]
	s_waitcnt vmcnt(0)
	v_xor_b32_e32 v22, 0x80000000, v17
	s_waitcnt lgkmcnt(0)
	v_xor_b32_e32 v23, 0x80000000, v21
	v_cndmask_b32_e32 v17, v17, v22, vcc
	v_cndmask_b32_e64 v21, v21, v23, s[0:1]
	v_mul_f64 v[22:23], v[16:17], v[20:21]
	v_mul_f64 v[16:17], v[16:17], v[18:19]
	v_fma_f64 v[18:19], v[14:15], v[18:19], -v[22:23]
	v_fma_f64 v[14:15], v[14:15], v[20:21], v[16:17]
	v_add_f64 v[6:7], v[6:7], v[18:19]
	v_add_f64 v[2:3], v[2:3], v[14:15]
	s_cbranch_scc0 .LBB45_3
	s_branch .LBB45_5
.LBB45_4:
	v_mov_b32_e32 v2, 0
	v_mov_b32_e32 v6, 0
	;; [unrolled: 1-line block ×4, first 2 shown]
.LBB45_5:
	v_mul_lo_u32 v8, v5, s12
	v_mul_lo_u32 v9, v4, s13
	v_mad_u64_u32 v[4:5], s[2:3], v4, s12, 0
	v_mul_lo_u32 v10, v1, s14
	v_mul_lo_u32 v11, v0, s15
	v_mad_u64_u32 v[0:1], s[2:3], v0, s14, 0
	s_lshl_b64 s[0:1], s[26:27], 4
	v_add3_u32 v5, v5, v9, v8
	s_waitcnt lgkmcnt(0)
	s_add_u32 s0, s10, s0
	v_lshlrev_b64 v[4:5], 4, v[4:5]
	s_addc_u32 s1, s11, s1
	v_add3_u32 v1, v1, v11, v10
	v_mov_b32_e32 v8, s1
	v_add_co_u32_e32 v4, vcc, s0, v4
	v_lshlrev_b64 v[0:1], 4, v[0:1]
	v_addc_co_u32_e32 v5, vcc, v8, v5, vcc
	v_add_co_u32_e32 v4, vcc, v4, v0
	v_addc_co_u32_e32 v5, vcc, v5, v1, vcc
	flat_load_dwordx4 v[8:11], v[4:5]
	v_mul_f64 v[0:1], s[6:7], v[2:3]
	v_mul_f64 v[2:3], s[18:19], v[2:3]
	v_fma_f64 v[0:1], s[18:19], v[6:7], -v[0:1]
	v_fma_f64 v[2:3], s[6:7], v[6:7], v[2:3]
	s_waitcnt vmcnt(0) lgkmcnt(0)
	v_mul_f64 v[12:13], s[22:23], v[10:11]
	v_mul_f64 v[10:11], s[20:21], v[10:11]
	v_fma_f64 v[6:7], s[20:21], v[8:9], -v[12:13]
	v_fma_f64 v[8:9], s[22:23], v[8:9], v[10:11]
	v_add_f64 v[0:1], v[0:1], v[6:7]
	v_add_f64 v[2:3], v[2:3], v[8:9]
	flat_store_dwordx4 v[4:5], v[0:3]
.LBB45_6:
	s_endpgm
	.section	.rodata,"a",@progbits
	.p2align	6, 0x0
	.amdhsa_kernel _ZN9rocsolver6v33100L11gemm_kernelI19rocblas_complex_numIdElS3_PS3_PKS4_S6_EEvT0_S7_S7_T1_bT2_lS7_S7_lbT3_lS7_S7_lS8_T4_lS7_S7_l
		.amdhsa_group_segment_fixed_size 0
		.amdhsa_private_segment_fixed_size 0
		.amdhsa_kernarg_size 448
		.amdhsa_user_sgpr_count 6
		.amdhsa_user_sgpr_private_segment_buffer 1
		.amdhsa_user_sgpr_dispatch_ptr 0
		.amdhsa_user_sgpr_queue_ptr 0
		.amdhsa_user_sgpr_kernarg_segment_ptr 1
		.amdhsa_user_sgpr_dispatch_id 0
		.amdhsa_user_sgpr_flat_scratch_init 0
		.amdhsa_user_sgpr_private_segment_size 0
		.amdhsa_uses_dynamic_stack 0
		.amdhsa_system_sgpr_private_segment_wavefront_offset 0
		.amdhsa_system_sgpr_workgroup_id_x 1
		.amdhsa_system_sgpr_workgroup_id_y 1
		.amdhsa_system_sgpr_workgroup_id_z 1
		.amdhsa_system_sgpr_workgroup_info 0
		.amdhsa_system_vgpr_workitem_id 1
		.amdhsa_next_free_vgpr 24
		.amdhsa_next_free_sgpr 52
		.amdhsa_reserve_vcc 1
		.amdhsa_reserve_flat_scratch 0
		.amdhsa_float_round_mode_32 0
		.amdhsa_float_round_mode_16_64 0
		.amdhsa_float_denorm_mode_32 3
		.amdhsa_float_denorm_mode_16_64 3
		.amdhsa_dx10_clamp 1
		.amdhsa_ieee_mode 1
		.amdhsa_fp16_overflow 0
		.amdhsa_exception_fp_ieee_invalid_op 0
		.amdhsa_exception_fp_denorm_src 0
		.amdhsa_exception_fp_ieee_div_zero 0
		.amdhsa_exception_fp_ieee_overflow 0
		.amdhsa_exception_fp_ieee_underflow 0
		.amdhsa_exception_fp_ieee_inexact 0
		.amdhsa_exception_int_div_zero 0
	.end_amdhsa_kernel
	.section	.text._ZN9rocsolver6v33100L11gemm_kernelI19rocblas_complex_numIdElS3_PS3_PKS4_S6_EEvT0_S7_S7_T1_bT2_lS7_S7_lbT3_lS7_S7_lS8_T4_lS7_S7_l,"axG",@progbits,_ZN9rocsolver6v33100L11gemm_kernelI19rocblas_complex_numIdElS3_PS3_PKS4_S6_EEvT0_S7_S7_T1_bT2_lS7_S7_lbT3_lS7_S7_lS8_T4_lS7_S7_l,comdat
.Lfunc_end45:
	.size	_ZN9rocsolver6v33100L11gemm_kernelI19rocblas_complex_numIdElS3_PS3_PKS4_S6_EEvT0_S7_S7_T1_bT2_lS7_S7_lbT3_lS7_S7_lS8_T4_lS7_S7_l, .Lfunc_end45-_ZN9rocsolver6v33100L11gemm_kernelI19rocblas_complex_numIdElS3_PS3_PKS4_S6_EEvT0_S7_S7_T1_bT2_lS7_S7_lbT3_lS7_S7_lS8_T4_lS7_S7_l
                                        ; -- End function
	.set _ZN9rocsolver6v33100L11gemm_kernelI19rocblas_complex_numIdElS3_PS3_PKS4_S6_EEvT0_S7_S7_T1_bT2_lS7_S7_lbT3_lS7_S7_lS8_T4_lS7_S7_l.num_vgpr, 24
	.set _ZN9rocsolver6v33100L11gemm_kernelI19rocblas_complex_numIdElS3_PS3_PKS4_S6_EEvT0_S7_S7_T1_bT2_lS7_S7_lbT3_lS7_S7_lS8_T4_lS7_S7_l.num_agpr, 0
	.set _ZN9rocsolver6v33100L11gemm_kernelI19rocblas_complex_numIdElS3_PS3_PKS4_S6_EEvT0_S7_S7_T1_bT2_lS7_S7_lbT3_lS7_S7_lS8_T4_lS7_S7_l.numbered_sgpr, 52
	.set _ZN9rocsolver6v33100L11gemm_kernelI19rocblas_complex_numIdElS3_PS3_PKS4_S6_EEvT0_S7_S7_T1_bT2_lS7_S7_lbT3_lS7_S7_lS8_T4_lS7_S7_l.num_named_barrier, 0
	.set _ZN9rocsolver6v33100L11gemm_kernelI19rocblas_complex_numIdElS3_PS3_PKS4_S6_EEvT0_S7_S7_T1_bT2_lS7_S7_lbT3_lS7_S7_lS8_T4_lS7_S7_l.private_seg_size, 0
	.set _ZN9rocsolver6v33100L11gemm_kernelI19rocblas_complex_numIdElS3_PS3_PKS4_S6_EEvT0_S7_S7_T1_bT2_lS7_S7_lbT3_lS7_S7_lS8_T4_lS7_S7_l.uses_vcc, 1
	.set _ZN9rocsolver6v33100L11gemm_kernelI19rocblas_complex_numIdElS3_PS3_PKS4_S6_EEvT0_S7_S7_T1_bT2_lS7_S7_lbT3_lS7_S7_lS8_T4_lS7_S7_l.uses_flat_scratch, 0
	.set _ZN9rocsolver6v33100L11gemm_kernelI19rocblas_complex_numIdElS3_PS3_PKS4_S6_EEvT0_S7_S7_T1_bT2_lS7_S7_lbT3_lS7_S7_lS8_T4_lS7_S7_l.has_dyn_sized_stack, 0
	.set _ZN9rocsolver6v33100L11gemm_kernelI19rocblas_complex_numIdElS3_PS3_PKS4_S6_EEvT0_S7_S7_T1_bT2_lS7_S7_lbT3_lS7_S7_lS8_T4_lS7_S7_l.has_recursion, 0
	.set _ZN9rocsolver6v33100L11gemm_kernelI19rocblas_complex_numIdElS3_PS3_PKS4_S6_EEvT0_S7_S7_T1_bT2_lS7_S7_lbT3_lS7_S7_lS8_T4_lS7_S7_l.has_indirect_call, 0
	.section	.AMDGPU.csdata,"",@progbits
; Kernel info:
; codeLenInByte = 848
; TotalNumSgprs: 56
; NumVgprs: 24
; ScratchSize: 0
; MemoryBound: 0
; FloatMode: 240
; IeeeMode: 1
; LDSByteSize: 0 bytes/workgroup (compile time only)
; SGPRBlocks: 6
; VGPRBlocks: 5
; NumSGPRsForWavesPerEU: 56
; NumVGPRsForWavesPerEU: 24
; Occupancy: 10
; WaveLimiterHint : 1
; COMPUTE_PGM_RSRC2:SCRATCH_EN: 0
; COMPUTE_PGM_RSRC2:USER_SGPR: 6
; COMPUTE_PGM_RSRC2:TRAP_HANDLER: 0
; COMPUTE_PGM_RSRC2:TGID_X_EN: 1
; COMPUTE_PGM_RSRC2:TGID_Y_EN: 1
; COMPUTE_PGM_RSRC2:TGID_Z_EN: 1
; COMPUTE_PGM_RSRC2:TIDIG_COMP_CNT: 1
	.section	.text._ZN9rocsolver6v33100L16mfma_gemm_kernelI19rocblas_complex_numIdElPKS3_PKPS3_S6_S8_EEv18rocblas_operation_S9_T0_SA_SA_T1_T2_lSA_SA_lT3_lSA_SA_lSB_T4_lSA_SA_l,"axG",@progbits,_ZN9rocsolver6v33100L16mfma_gemm_kernelI19rocblas_complex_numIdElPKS3_PKPS3_S6_S8_EEv18rocblas_operation_S9_T0_SA_SA_T1_T2_lSA_SA_lT3_lSA_SA_lSB_T4_lSA_SA_l,comdat
	.globl	_ZN9rocsolver6v33100L16mfma_gemm_kernelI19rocblas_complex_numIdElPKS3_PKPS3_S6_S8_EEv18rocblas_operation_S9_T0_SA_SA_T1_T2_lSA_SA_lT3_lSA_SA_lSB_T4_lSA_SA_l ; -- Begin function _ZN9rocsolver6v33100L16mfma_gemm_kernelI19rocblas_complex_numIdElPKS3_PKPS3_S6_S8_EEv18rocblas_operation_S9_T0_SA_SA_T1_T2_lSA_SA_lT3_lSA_SA_lSB_T4_lSA_SA_l
	.p2align	8
	.type	_ZN9rocsolver6v33100L16mfma_gemm_kernelI19rocblas_complex_numIdElPKS3_PKPS3_S6_S8_EEv18rocblas_operation_S9_T0_SA_SA_T1_T2_lSA_SA_lT3_lSA_SA_lSB_T4_lSA_SA_l,@function
_ZN9rocsolver6v33100L16mfma_gemm_kernelI19rocblas_complex_numIdElPKS3_PKPS3_S6_S8_EEv18rocblas_operation_S9_T0_SA_SA_T1_T2_lSA_SA_lT3_lSA_SA_lSB_T4_lSA_SA_l: ; @_ZN9rocsolver6v33100L16mfma_gemm_kernelI19rocblas_complex_numIdElPKS3_PKPS3_S6_S8_EEv18rocblas_operation_S9_T0_SA_SA_T1_T2_lSA_SA_lT3_lSA_SA_lSB_T4_lSA_SA_l
; %bb.0:
	s_endpgm
	.section	.rodata,"a",@progbits
	.p2align	6, 0x0
	.amdhsa_kernel _ZN9rocsolver6v33100L16mfma_gemm_kernelI19rocblas_complex_numIdElPKS3_PKPS3_S6_S8_EEv18rocblas_operation_S9_T0_SA_SA_T1_T2_lSA_SA_lT3_lSA_SA_lSB_T4_lSA_SA_l
		.amdhsa_group_segment_fixed_size 0
		.amdhsa_private_segment_fixed_size 0
		.amdhsa_kernarg_size 168
		.amdhsa_user_sgpr_count 6
		.amdhsa_user_sgpr_private_segment_buffer 1
		.amdhsa_user_sgpr_dispatch_ptr 0
		.amdhsa_user_sgpr_queue_ptr 0
		.amdhsa_user_sgpr_kernarg_segment_ptr 1
		.amdhsa_user_sgpr_dispatch_id 0
		.amdhsa_user_sgpr_flat_scratch_init 0
		.amdhsa_user_sgpr_private_segment_size 0
		.amdhsa_uses_dynamic_stack 0
		.amdhsa_system_sgpr_private_segment_wavefront_offset 0
		.amdhsa_system_sgpr_workgroup_id_x 1
		.amdhsa_system_sgpr_workgroup_id_y 0
		.amdhsa_system_sgpr_workgroup_id_z 0
		.amdhsa_system_sgpr_workgroup_info 0
		.amdhsa_system_vgpr_workitem_id 0
		.amdhsa_next_free_vgpr 1
		.amdhsa_next_free_sgpr 0
		.amdhsa_reserve_vcc 0
		.amdhsa_reserve_flat_scratch 0
		.amdhsa_float_round_mode_32 0
		.amdhsa_float_round_mode_16_64 0
		.amdhsa_float_denorm_mode_32 3
		.amdhsa_float_denorm_mode_16_64 3
		.amdhsa_dx10_clamp 1
		.amdhsa_ieee_mode 1
		.amdhsa_fp16_overflow 0
		.amdhsa_exception_fp_ieee_invalid_op 0
		.amdhsa_exception_fp_denorm_src 0
		.amdhsa_exception_fp_ieee_div_zero 0
		.amdhsa_exception_fp_ieee_overflow 0
		.amdhsa_exception_fp_ieee_underflow 0
		.amdhsa_exception_fp_ieee_inexact 0
		.amdhsa_exception_int_div_zero 0
	.end_amdhsa_kernel
	.section	.text._ZN9rocsolver6v33100L16mfma_gemm_kernelI19rocblas_complex_numIdElPKS3_PKPS3_S6_S8_EEv18rocblas_operation_S9_T0_SA_SA_T1_T2_lSA_SA_lT3_lSA_SA_lSB_T4_lSA_SA_l,"axG",@progbits,_ZN9rocsolver6v33100L16mfma_gemm_kernelI19rocblas_complex_numIdElPKS3_PKPS3_S6_S8_EEv18rocblas_operation_S9_T0_SA_SA_T1_T2_lSA_SA_lT3_lSA_SA_lSB_T4_lSA_SA_l,comdat
.Lfunc_end46:
	.size	_ZN9rocsolver6v33100L16mfma_gemm_kernelI19rocblas_complex_numIdElPKS3_PKPS3_S6_S8_EEv18rocblas_operation_S9_T0_SA_SA_T1_T2_lSA_SA_lT3_lSA_SA_lSB_T4_lSA_SA_l, .Lfunc_end46-_ZN9rocsolver6v33100L16mfma_gemm_kernelI19rocblas_complex_numIdElPKS3_PKPS3_S6_S8_EEv18rocblas_operation_S9_T0_SA_SA_T1_T2_lSA_SA_lT3_lSA_SA_lSB_T4_lSA_SA_l
                                        ; -- End function
	.set _ZN9rocsolver6v33100L16mfma_gemm_kernelI19rocblas_complex_numIdElPKS3_PKPS3_S6_S8_EEv18rocblas_operation_S9_T0_SA_SA_T1_T2_lSA_SA_lT3_lSA_SA_lSB_T4_lSA_SA_l.num_vgpr, 0
	.set _ZN9rocsolver6v33100L16mfma_gemm_kernelI19rocblas_complex_numIdElPKS3_PKPS3_S6_S8_EEv18rocblas_operation_S9_T0_SA_SA_T1_T2_lSA_SA_lT3_lSA_SA_lSB_T4_lSA_SA_l.num_agpr, 0
	.set _ZN9rocsolver6v33100L16mfma_gemm_kernelI19rocblas_complex_numIdElPKS3_PKPS3_S6_S8_EEv18rocblas_operation_S9_T0_SA_SA_T1_T2_lSA_SA_lT3_lSA_SA_lSB_T4_lSA_SA_l.numbered_sgpr, 0
	.set _ZN9rocsolver6v33100L16mfma_gemm_kernelI19rocblas_complex_numIdElPKS3_PKPS3_S6_S8_EEv18rocblas_operation_S9_T0_SA_SA_T1_T2_lSA_SA_lT3_lSA_SA_lSB_T4_lSA_SA_l.num_named_barrier, 0
	.set _ZN9rocsolver6v33100L16mfma_gemm_kernelI19rocblas_complex_numIdElPKS3_PKPS3_S6_S8_EEv18rocblas_operation_S9_T0_SA_SA_T1_T2_lSA_SA_lT3_lSA_SA_lSB_T4_lSA_SA_l.private_seg_size, 0
	.set _ZN9rocsolver6v33100L16mfma_gemm_kernelI19rocblas_complex_numIdElPKS3_PKPS3_S6_S8_EEv18rocblas_operation_S9_T0_SA_SA_T1_T2_lSA_SA_lT3_lSA_SA_lSB_T4_lSA_SA_l.uses_vcc, 0
	.set _ZN9rocsolver6v33100L16mfma_gemm_kernelI19rocblas_complex_numIdElPKS3_PKPS3_S6_S8_EEv18rocblas_operation_S9_T0_SA_SA_T1_T2_lSA_SA_lT3_lSA_SA_lSB_T4_lSA_SA_l.uses_flat_scratch, 0
	.set _ZN9rocsolver6v33100L16mfma_gemm_kernelI19rocblas_complex_numIdElPKS3_PKPS3_S6_S8_EEv18rocblas_operation_S9_T0_SA_SA_T1_T2_lSA_SA_lT3_lSA_SA_lSB_T4_lSA_SA_l.has_dyn_sized_stack, 0
	.set _ZN9rocsolver6v33100L16mfma_gemm_kernelI19rocblas_complex_numIdElPKS3_PKPS3_S6_S8_EEv18rocblas_operation_S9_T0_SA_SA_T1_T2_lSA_SA_lT3_lSA_SA_lSB_T4_lSA_SA_l.has_recursion, 0
	.set _ZN9rocsolver6v33100L16mfma_gemm_kernelI19rocblas_complex_numIdElPKS3_PKPS3_S6_S8_EEv18rocblas_operation_S9_T0_SA_SA_T1_T2_lSA_SA_lT3_lSA_SA_lSB_T4_lSA_SA_l.has_indirect_call, 0
	.section	.AMDGPU.csdata,"",@progbits
; Kernel info:
; codeLenInByte = 4
; TotalNumSgprs: 4
; NumVgprs: 0
; ScratchSize: 0
; MemoryBound: 0
; FloatMode: 240
; IeeeMode: 1
; LDSByteSize: 0 bytes/workgroup (compile time only)
; SGPRBlocks: 0
; VGPRBlocks: 0
; NumSGPRsForWavesPerEU: 4
; NumVGPRsForWavesPerEU: 1
; Occupancy: 10
; WaveLimiterHint : 0
; COMPUTE_PGM_RSRC2:SCRATCH_EN: 0
; COMPUTE_PGM_RSRC2:USER_SGPR: 6
; COMPUTE_PGM_RSRC2:TRAP_HANDLER: 0
; COMPUTE_PGM_RSRC2:TGID_X_EN: 1
; COMPUTE_PGM_RSRC2:TGID_Y_EN: 0
; COMPUTE_PGM_RSRC2:TGID_Z_EN: 0
; COMPUTE_PGM_RSRC2:TIDIG_COMP_CNT: 0
	.section	.text._ZN9rocsolver6v33100L16mfma_gemm_kernelI19rocblas_complex_numIdElS3_PKPS3_S4_S6_EEv18rocblas_operation_S7_T0_S8_S8_T1_T2_lS8_S8_lT3_lS8_S8_lS9_T4_lS8_S8_l,"axG",@progbits,_ZN9rocsolver6v33100L16mfma_gemm_kernelI19rocblas_complex_numIdElS3_PKPS3_S4_S6_EEv18rocblas_operation_S7_T0_S8_S8_T1_T2_lS8_S8_lT3_lS8_S8_lS9_T4_lS8_S8_l,comdat
	.globl	_ZN9rocsolver6v33100L16mfma_gemm_kernelI19rocblas_complex_numIdElS3_PKPS3_S4_S6_EEv18rocblas_operation_S7_T0_S8_S8_T1_T2_lS8_S8_lT3_lS8_S8_lS9_T4_lS8_S8_l ; -- Begin function _ZN9rocsolver6v33100L16mfma_gemm_kernelI19rocblas_complex_numIdElS3_PKPS3_S4_S6_EEv18rocblas_operation_S7_T0_S8_S8_T1_T2_lS8_S8_lT3_lS8_S8_lS9_T4_lS8_S8_l
	.p2align	8
	.type	_ZN9rocsolver6v33100L16mfma_gemm_kernelI19rocblas_complex_numIdElS3_PKPS3_S4_S6_EEv18rocblas_operation_S7_T0_S8_S8_T1_T2_lS8_S8_lT3_lS8_S8_lS9_T4_lS8_S8_l,@function
_ZN9rocsolver6v33100L16mfma_gemm_kernelI19rocblas_complex_numIdElS3_PKPS3_S4_S6_EEv18rocblas_operation_S7_T0_S8_S8_T1_T2_lS8_S8_lT3_lS8_S8_lS9_T4_lS8_S8_l: ; @_ZN9rocsolver6v33100L16mfma_gemm_kernelI19rocblas_complex_numIdElS3_PKPS3_S4_S6_EEv18rocblas_operation_S7_T0_S8_S8_T1_T2_lS8_S8_lT3_lS8_S8_lS9_T4_lS8_S8_l
; %bb.0:
	s_endpgm
	.section	.rodata,"a",@progbits
	.p2align	6, 0x0
	.amdhsa_kernel _ZN9rocsolver6v33100L16mfma_gemm_kernelI19rocblas_complex_numIdElS3_PKPS3_S4_S6_EEv18rocblas_operation_S7_T0_S8_S8_T1_T2_lS8_S8_lT3_lS8_S8_lS9_T4_lS8_S8_l
		.amdhsa_group_segment_fixed_size 0
		.amdhsa_private_segment_fixed_size 0
		.amdhsa_kernarg_size 184
		.amdhsa_user_sgpr_count 6
		.amdhsa_user_sgpr_private_segment_buffer 1
		.amdhsa_user_sgpr_dispatch_ptr 0
		.amdhsa_user_sgpr_queue_ptr 0
		.amdhsa_user_sgpr_kernarg_segment_ptr 1
		.amdhsa_user_sgpr_dispatch_id 0
		.amdhsa_user_sgpr_flat_scratch_init 0
		.amdhsa_user_sgpr_private_segment_size 0
		.amdhsa_uses_dynamic_stack 0
		.amdhsa_system_sgpr_private_segment_wavefront_offset 0
		.amdhsa_system_sgpr_workgroup_id_x 1
		.amdhsa_system_sgpr_workgroup_id_y 0
		.amdhsa_system_sgpr_workgroup_id_z 0
		.amdhsa_system_sgpr_workgroup_info 0
		.amdhsa_system_vgpr_workitem_id 0
		.amdhsa_next_free_vgpr 1
		.amdhsa_next_free_sgpr 0
		.amdhsa_reserve_vcc 0
		.amdhsa_reserve_flat_scratch 0
		.amdhsa_float_round_mode_32 0
		.amdhsa_float_round_mode_16_64 0
		.amdhsa_float_denorm_mode_32 3
		.amdhsa_float_denorm_mode_16_64 3
		.amdhsa_dx10_clamp 1
		.amdhsa_ieee_mode 1
		.amdhsa_fp16_overflow 0
		.amdhsa_exception_fp_ieee_invalid_op 0
		.amdhsa_exception_fp_denorm_src 0
		.amdhsa_exception_fp_ieee_div_zero 0
		.amdhsa_exception_fp_ieee_overflow 0
		.amdhsa_exception_fp_ieee_underflow 0
		.amdhsa_exception_fp_ieee_inexact 0
		.amdhsa_exception_int_div_zero 0
	.end_amdhsa_kernel
	.section	.text._ZN9rocsolver6v33100L16mfma_gemm_kernelI19rocblas_complex_numIdElS3_PKPS3_S4_S6_EEv18rocblas_operation_S7_T0_S8_S8_T1_T2_lS8_S8_lT3_lS8_S8_lS9_T4_lS8_S8_l,"axG",@progbits,_ZN9rocsolver6v33100L16mfma_gemm_kernelI19rocblas_complex_numIdElS3_PKPS3_S4_S6_EEv18rocblas_operation_S7_T0_S8_S8_T1_T2_lS8_S8_lT3_lS8_S8_lS9_T4_lS8_S8_l,comdat
.Lfunc_end47:
	.size	_ZN9rocsolver6v33100L16mfma_gemm_kernelI19rocblas_complex_numIdElS3_PKPS3_S4_S6_EEv18rocblas_operation_S7_T0_S8_S8_T1_T2_lS8_S8_lT3_lS8_S8_lS9_T4_lS8_S8_l, .Lfunc_end47-_ZN9rocsolver6v33100L16mfma_gemm_kernelI19rocblas_complex_numIdElS3_PKPS3_S4_S6_EEv18rocblas_operation_S7_T0_S8_S8_T1_T2_lS8_S8_lT3_lS8_S8_lS9_T4_lS8_S8_l
                                        ; -- End function
	.set _ZN9rocsolver6v33100L16mfma_gemm_kernelI19rocblas_complex_numIdElS3_PKPS3_S4_S6_EEv18rocblas_operation_S7_T0_S8_S8_T1_T2_lS8_S8_lT3_lS8_S8_lS9_T4_lS8_S8_l.num_vgpr, 0
	.set _ZN9rocsolver6v33100L16mfma_gemm_kernelI19rocblas_complex_numIdElS3_PKPS3_S4_S6_EEv18rocblas_operation_S7_T0_S8_S8_T1_T2_lS8_S8_lT3_lS8_S8_lS9_T4_lS8_S8_l.num_agpr, 0
	.set _ZN9rocsolver6v33100L16mfma_gemm_kernelI19rocblas_complex_numIdElS3_PKPS3_S4_S6_EEv18rocblas_operation_S7_T0_S8_S8_T1_T2_lS8_S8_lT3_lS8_S8_lS9_T4_lS8_S8_l.numbered_sgpr, 0
	.set _ZN9rocsolver6v33100L16mfma_gemm_kernelI19rocblas_complex_numIdElS3_PKPS3_S4_S6_EEv18rocblas_operation_S7_T0_S8_S8_T1_T2_lS8_S8_lT3_lS8_S8_lS9_T4_lS8_S8_l.num_named_barrier, 0
	.set _ZN9rocsolver6v33100L16mfma_gemm_kernelI19rocblas_complex_numIdElS3_PKPS3_S4_S6_EEv18rocblas_operation_S7_T0_S8_S8_T1_T2_lS8_S8_lT3_lS8_S8_lS9_T4_lS8_S8_l.private_seg_size, 0
	.set _ZN9rocsolver6v33100L16mfma_gemm_kernelI19rocblas_complex_numIdElS3_PKPS3_S4_S6_EEv18rocblas_operation_S7_T0_S8_S8_T1_T2_lS8_S8_lT3_lS8_S8_lS9_T4_lS8_S8_l.uses_vcc, 0
	.set _ZN9rocsolver6v33100L16mfma_gemm_kernelI19rocblas_complex_numIdElS3_PKPS3_S4_S6_EEv18rocblas_operation_S7_T0_S8_S8_T1_T2_lS8_S8_lT3_lS8_S8_lS9_T4_lS8_S8_l.uses_flat_scratch, 0
	.set _ZN9rocsolver6v33100L16mfma_gemm_kernelI19rocblas_complex_numIdElS3_PKPS3_S4_S6_EEv18rocblas_operation_S7_T0_S8_S8_T1_T2_lS8_S8_lT3_lS8_S8_lS9_T4_lS8_S8_l.has_dyn_sized_stack, 0
	.set _ZN9rocsolver6v33100L16mfma_gemm_kernelI19rocblas_complex_numIdElS3_PKPS3_S4_S6_EEv18rocblas_operation_S7_T0_S8_S8_T1_T2_lS8_S8_lT3_lS8_S8_lS9_T4_lS8_S8_l.has_recursion, 0
	.set _ZN9rocsolver6v33100L16mfma_gemm_kernelI19rocblas_complex_numIdElS3_PKPS3_S4_S6_EEv18rocblas_operation_S7_T0_S8_S8_T1_T2_lS8_S8_lT3_lS8_S8_lS9_T4_lS8_S8_l.has_indirect_call, 0
	.section	.AMDGPU.csdata,"",@progbits
; Kernel info:
; codeLenInByte = 4
; TotalNumSgprs: 4
; NumVgprs: 0
; ScratchSize: 0
; MemoryBound: 0
; FloatMode: 240
; IeeeMode: 1
; LDSByteSize: 0 bytes/workgroup (compile time only)
; SGPRBlocks: 0
; VGPRBlocks: 0
; NumSGPRsForWavesPerEU: 4
; NumVGPRsForWavesPerEU: 1
; Occupancy: 10
; WaveLimiterHint : 0
; COMPUTE_PGM_RSRC2:SCRATCH_EN: 0
; COMPUTE_PGM_RSRC2:USER_SGPR: 6
; COMPUTE_PGM_RSRC2:TRAP_HANDLER: 0
; COMPUTE_PGM_RSRC2:TGID_X_EN: 1
; COMPUTE_PGM_RSRC2:TGID_Y_EN: 0
; COMPUTE_PGM_RSRC2:TGID_Z_EN: 0
; COMPUTE_PGM_RSRC2:TIDIG_COMP_CNT: 0
	.section	.text._ZN9rocsolver6v33100L11gemm_kernelI19rocblas_complex_numIdElPKS3_PKPS3_S6_S8_EEvT0_S9_S9_T1_bT2_lS9_S9_lbT3_lS9_S9_lSA_T4_lS9_S9_l,"axG",@progbits,_ZN9rocsolver6v33100L11gemm_kernelI19rocblas_complex_numIdElPKS3_PKPS3_S6_S8_EEvT0_S9_S9_T1_bT2_lS9_S9_lbT3_lS9_S9_lSA_T4_lS9_S9_l,comdat
	.globl	_ZN9rocsolver6v33100L11gemm_kernelI19rocblas_complex_numIdElPKS3_PKPS3_S6_S8_EEvT0_S9_S9_T1_bT2_lS9_S9_lbT3_lS9_S9_lSA_T4_lS9_S9_l ; -- Begin function _ZN9rocsolver6v33100L11gemm_kernelI19rocblas_complex_numIdElPKS3_PKPS3_S6_S8_EEvT0_S9_S9_T1_bT2_lS9_S9_lbT3_lS9_S9_lSA_T4_lS9_S9_l
	.p2align	8
	.type	_ZN9rocsolver6v33100L11gemm_kernelI19rocblas_complex_numIdElPKS3_PKPS3_S6_S8_EEvT0_S9_S9_T1_bT2_lS9_S9_lbT3_lS9_S9_lSA_T4_lS9_S9_l,@function
_ZN9rocsolver6v33100L11gemm_kernelI19rocblas_complex_numIdElPKS3_PKPS3_S6_S8_EEvT0_S9_S9_T1_bT2_lS9_S9_lbT3_lS9_S9_lSA_T4_lS9_S9_l: ; @_ZN9rocsolver6v33100L11gemm_kernelI19rocblas_complex_numIdElPKS3_PKPS3_S6_S8_EEvT0_S9_S9_T1_bT2_lS9_S9_lbT3_lS9_S9_lSA_T4_lS9_S9_l
; %bb.0:
	s_load_dword s0, s[4:5], 0xbc
	s_load_dwordx8 s[24:31], s[4:5], 0x0
	v_mov_b32_e32 v2, v0
	v_mov_b32_e32 v3, 0
	;; [unrolled: 1-line block ×3, first 2 shown]
	s_waitcnt lgkmcnt(0)
	s_lshr_b32 s2, s0, 16
	s_and_b32 s0, s0, 0xffff
	v_mad_u64_u32 v[4:5], s[0:1], s0, v0, v[2:3]
	v_mov_b32_e32 v2, v3
	v_mov_b32_e32 v0, s7
	v_mad_u64_u32 v[0:1], s[0:1], s2, v0, v[1:2]
	v_cmp_gt_i64_e32 vcc, s[24:25], v[4:5]
	v_cmp_gt_i64_e64 s[0:1], s[26:27], v[0:1]
	s_and_b64 s[0:1], vcc, s[0:1]
	s_and_saveexec_b64 s[2:3], s[0:1]
	s_cbranch_execz .LBB48_6
; %bb.1:
	s_load_dwordx16 s[12:27], s[4:5], 0x58
	s_mov_b32 s9, 0
	s_lshl_b64 s[0:1], s[8:9], 3
	s_waitcnt lgkmcnt(0)
	s_add_u32 s2, s24, s0
	s_addc_u32 s3, s25, s1
	s_load_dwordx2 s[24:25], s[2:3], 0x0
	v_cmp_lt_i64_e64 s[2:3], s[28:29], 1
	s_and_b64 vcc, exec, s[2:3]
	s_cbranch_vccnz .LBB48_4
; %bb.2:
	s_load_dwordx8 s[36:43], s[4:5], 0x28
	s_load_dword s6, s[4:5], 0x20
	s_load_dword s7, s[4:5], 0x50
	v_mul_lo_u32 v10, s19, v0
	v_mul_lo_u32 v11, s18, v1
	s_waitcnt lgkmcnt(0)
	s_add_u32 s0, s36, s0
	s_addc_u32 s1, s37, s1
	s_load_dwordx2 s[2:3], s[0:1], 0x0
	s_bitcmp1_b32 s6, 0
	s_cselect_b64 vcc, -1, 0
	s_bitcmp1_b32 s7, 0
	v_mul_lo_u32 v6, v5, s40
	v_mul_lo_u32 v7, v4, s41
	v_mad_u64_u32 v[2:3], s[6:7], v4, s40, 0
	s_cselect_b64 s[0:1], -1, 0
	s_lshl_b64 s[6:7], s[38:39], 4
	s_waitcnt lgkmcnt(0)
	s_add_u32 s6, s2, s6
	v_add3_u32 v3, v3, v7, v6
	s_addc_u32 s2, s3, s7
	v_lshlrev_b64 v[2:3], 4, v[2:3]
	v_mov_b32_e32 v9, s2
	v_mad_u64_u32 v[6:7], s[2:3], s18, v0, 0
	v_add_co_u32_e64 v8, s[2:3], s6, v2
	v_addc_co_u32_e64 v9, s[2:3], v9, v3, s[2:3]
	s_mul_i32 s2, s21, s8
	s_mul_hi_u32 s3, s20, s8
	s_add_i32 s3, s3, s2
	s_mul_i32 s2, s20, s8
	s_lshl_b64 s[10:11], s[42:43], 4
	s_lshl_b64 s[2:3], s[2:3], 4
	s_lshl_b64 s[6:7], s[14:15], 4
	s_add_u32 s6, s12, s6
	v_add3_u32 v7, v7, v11, v10
	s_addc_u32 s7, s13, s7
	v_lshlrev_b64 v[2:3], 4, v[6:7]
	s_add_u32 s2, s6, s2
	s_addc_u32 s3, s7, s3
	v_mov_b32_e32 v6, s3
	v_add_co_u32_e64 v2, s[2:3], s2, v2
	v_addc_co_u32_e64 v3, s[2:3], v6, v3, s[2:3]
	v_add_co_u32_e64 v10, s[2:3], 8, v2
	v_addc_co_u32_e64 v11, s[2:3], 0, v3, s[2:3]
	s_lshl_b64 s[8:9], s[16:17], 4
	v_mov_b32_e32 v2, 0
	v_mov_b32_e32 v6, 0
	;; [unrolled: 1-line block ×6, first 2 shown]
.LBB48_3:                               ; =>This Inner Loop Header: Depth=1
	flat_load_dwordx4 v[14:17], v[8:9]
	global_load_dwordx4 v[18:21], v[10:11], off offset:-8
	s_add_u32 s28, s28, -1
	v_add_co_u32_e64 v10, s[2:3], s8, v10
	v_add_co_u32_e64 v8, s[6:7], s10, v8
	s_addc_u32 s29, s29, -1
	v_addc_co_u32_e64 v9, s[6:7], v9, v12, s[6:7]
	s_cmp_eq_u64 s[28:29], 0
	v_addc_co_u32_e64 v11, s[2:3], v11, v13, s[2:3]
	s_waitcnt vmcnt(0) lgkmcnt(0)
	v_xor_b32_e32 v22, 0x80000000, v17
	v_xor_b32_e32 v23, 0x80000000, v21
	v_cndmask_b32_e32 v17, v17, v22, vcc
	v_cndmask_b32_e64 v21, v21, v23, s[0:1]
	v_mul_f64 v[22:23], v[16:17], v[20:21]
	v_mul_f64 v[16:17], v[16:17], v[18:19]
	v_fma_f64 v[18:19], v[14:15], v[18:19], -v[22:23]
	v_fma_f64 v[14:15], v[14:15], v[20:21], v[16:17]
	v_add_f64 v[6:7], v[6:7], v[18:19]
	v_add_f64 v[2:3], v[2:3], v[14:15]
	s_cbranch_scc0 .LBB48_3
	s_branch .LBB48_5
.LBB48_4:
	v_mov_b32_e32 v2, 0
	v_mov_b32_e32 v6, 0
	;; [unrolled: 1-line block ×4, first 2 shown]
.LBB48_5:
	s_load_dwordx4 s[8:11], s[30:31], 0x0
	s_load_dwordx4 s[0:3], s[22:23], 0x0
                                        ; kill: killed $sgpr30_sgpr31
                                        ; kill: killed $sgpr22_sgpr23
	s_load_dwordx4 s[12:15], s[4:5], 0x98
	s_lshl_b64 s[4:5], s[26:27], 4
	s_waitcnt lgkmcnt(0)
	s_add_u32 s4, s24, s4
	s_addc_u32 s5, s25, s5
	v_mul_lo_u32 v8, v5, s12
	v_mul_lo_u32 v9, v4, s13
	v_mad_u64_u32 v[4:5], s[6:7], v4, s12, 0
	v_mul_lo_u32 v10, v1, s14
	v_mul_lo_u32 v11, v0, s15
	v_mad_u64_u32 v[0:1], s[6:7], v0, s14, 0
	v_add3_u32 v5, v5, v9, v8
	v_lshlrev_b64 v[4:5], 4, v[4:5]
	v_add3_u32 v1, v1, v11, v10
	v_mov_b32_e32 v8, s5
	v_add_co_u32_e32 v4, vcc, s4, v4
	v_lshlrev_b64 v[0:1], 4, v[0:1]
	v_addc_co_u32_e32 v5, vcc, v8, v5, vcc
	v_add_co_u32_e32 v4, vcc, v4, v0
	v_addc_co_u32_e32 v5, vcc, v5, v1, vcc
	flat_load_dwordx4 v[8:11], v[4:5]
	v_mul_f64 v[0:1], s[10:11], v[2:3]
	v_mul_f64 v[2:3], s[8:9], v[2:3]
	v_fma_f64 v[0:1], s[8:9], v[6:7], -v[0:1]
	v_fma_f64 v[2:3], s[10:11], v[6:7], v[2:3]
	s_waitcnt vmcnt(0) lgkmcnt(0)
	v_mul_f64 v[12:13], s[2:3], v[10:11]
	v_mul_f64 v[10:11], s[0:1], v[10:11]
	v_fma_f64 v[6:7], s[0:1], v[8:9], -v[12:13]
	v_fma_f64 v[8:9], s[2:3], v[8:9], v[10:11]
	v_add_f64 v[0:1], v[0:1], v[6:7]
	v_add_f64 v[2:3], v[2:3], v[8:9]
	flat_store_dwordx4 v[4:5], v[0:3]
.LBB48_6:
	s_endpgm
	.section	.rodata,"a",@progbits
	.p2align	6, 0x0
	.amdhsa_kernel _ZN9rocsolver6v33100L11gemm_kernelI19rocblas_complex_numIdElPKS3_PKPS3_S6_S8_EEvT0_S9_S9_T1_bT2_lS9_S9_lbT3_lS9_S9_lSA_T4_lS9_S9_l
		.amdhsa_group_segment_fixed_size 0
		.amdhsa_private_segment_fixed_size 0
		.amdhsa_kernarg_size 432
		.amdhsa_user_sgpr_count 6
		.amdhsa_user_sgpr_private_segment_buffer 1
		.amdhsa_user_sgpr_dispatch_ptr 0
		.amdhsa_user_sgpr_queue_ptr 0
		.amdhsa_user_sgpr_kernarg_segment_ptr 1
		.amdhsa_user_sgpr_dispatch_id 0
		.amdhsa_user_sgpr_flat_scratch_init 0
		.amdhsa_user_sgpr_private_segment_size 0
		.amdhsa_uses_dynamic_stack 0
		.amdhsa_system_sgpr_private_segment_wavefront_offset 0
		.amdhsa_system_sgpr_workgroup_id_x 1
		.amdhsa_system_sgpr_workgroup_id_y 1
		.amdhsa_system_sgpr_workgroup_id_z 1
		.amdhsa_system_sgpr_workgroup_info 0
		.amdhsa_system_vgpr_workitem_id 1
		.amdhsa_next_free_vgpr 24
		.amdhsa_next_free_sgpr 44
		.amdhsa_reserve_vcc 1
		.amdhsa_reserve_flat_scratch 0
		.amdhsa_float_round_mode_32 0
		.amdhsa_float_round_mode_16_64 0
		.amdhsa_float_denorm_mode_32 3
		.amdhsa_float_denorm_mode_16_64 3
		.amdhsa_dx10_clamp 1
		.amdhsa_ieee_mode 1
		.amdhsa_fp16_overflow 0
		.amdhsa_exception_fp_ieee_invalid_op 0
		.amdhsa_exception_fp_denorm_src 0
		.amdhsa_exception_fp_ieee_div_zero 0
		.amdhsa_exception_fp_ieee_overflow 0
		.amdhsa_exception_fp_ieee_underflow 0
		.amdhsa_exception_fp_ieee_inexact 0
		.amdhsa_exception_int_div_zero 0
	.end_amdhsa_kernel
	.section	.text._ZN9rocsolver6v33100L11gemm_kernelI19rocblas_complex_numIdElPKS3_PKPS3_S6_S8_EEvT0_S9_S9_T1_bT2_lS9_S9_lbT3_lS9_S9_lSA_T4_lS9_S9_l,"axG",@progbits,_ZN9rocsolver6v33100L11gemm_kernelI19rocblas_complex_numIdElPKS3_PKPS3_S6_S8_EEvT0_S9_S9_T1_bT2_lS9_S9_lbT3_lS9_S9_lSA_T4_lS9_S9_l,comdat
.Lfunc_end48:
	.size	_ZN9rocsolver6v33100L11gemm_kernelI19rocblas_complex_numIdElPKS3_PKPS3_S6_S8_EEvT0_S9_S9_T1_bT2_lS9_S9_lbT3_lS9_S9_lSA_T4_lS9_S9_l, .Lfunc_end48-_ZN9rocsolver6v33100L11gemm_kernelI19rocblas_complex_numIdElPKS3_PKPS3_S6_S8_EEvT0_S9_S9_T1_bT2_lS9_S9_lbT3_lS9_S9_lSA_T4_lS9_S9_l
                                        ; -- End function
	.set _ZN9rocsolver6v33100L11gemm_kernelI19rocblas_complex_numIdElPKS3_PKPS3_S6_S8_EEvT0_S9_S9_T1_bT2_lS9_S9_lbT3_lS9_S9_lSA_T4_lS9_S9_l.num_vgpr, 24
	.set _ZN9rocsolver6v33100L11gemm_kernelI19rocblas_complex_numIdElPKS3_PKPS3_S6_S8_EEvT0_S9_S9_T1_bT2_lS9_S9_lbT3_lS9_S9_lSA_T4_lS9_S9_l.num_agpr, 0
	.set _ZN9rocsolver6v33100L11gemm_kernelI19rocblas_complex_numIdElPKS3_PKPS3_S6_S8_EEvT0_S9_S9_T1_bT2_lS9_S9_lbT3_lS9_S9_lSA_T4_lS9_S9_l.numbered_sgpr, 44
	.set _ZN9rocsolver6v33100L11gemm_kernelI19rocblas_complex_numIdElPKS3_PKPS3_S6_S8_EEvT0_S9_S9_T1_bT2_lS9_S9_lbT3_lS9_S9_lSA_T4_lS9_S9_l.num_named_barrier, 0
	.set _ZN9rocsolver6v33100L11gemm_kernelI19rocblas_complex_numIdElPKS3_PKPS3_S6_S8_EEvT0_S9_S9_T1_bT2_lS9_S9_lbT3_lS9_S9_lSA_T4_lS9_S9_l.private_seg_size, 0
	.set _ZN9rocsolver6v33100L11gemm_kernelI19rocblas_complex_numIdElPKS3_PKPS3_S6_S8_EEvT0_S9_S9_T1_bT2_lS9_S9_lbT3_lS9_S9_lSA_T4_lS9_S9_l.uses_vcc, 1
	.set _ZN9rocsolver6v33100L11gemm_kernelI19rocblas_complex_numIdElPKS3_PKPS3_S6_S8_EEvT0_S9_S9_T1_bT2_lS9_S9_lbT3_lS9_S9_lSA_T4_lS9_S9_l.uses_flat_scratch, 0
	.set _ZN9rocsolver6v33100L11gemm_kernelI19rocblas_complex_numIdElPKS3_PKPS3_S6_S8_EEvT0_S9_S9_T1_bT2_lS9_S9_lbT3_lS9_S9_lSA_T4_lS9_S9_l.has_dyn_sized_stack, 0
	.set _ZN9rocsolver6v33100L11gemm_kernelI19rocblas_complex_numIdElPKS3_PKPS3_S6_S8_EEvT0_S9_S9_T1_bT2_lS9_S9_lbT3_lS9_S9_lSA_T4_lS9_S9_l.has_recursion, 0
	.set _ZN9rocsolver6v33100L11gemm_kernelI19rocblas_complex_numIdElPKS3_PKPS3_S6_S8_EEvT0_S9_S9_T1_bT2_lS9_S9_lbT3_lS9_S9_lSA_T4_lS9_S9_l.has_indirect_call, 0
	.section	.AMDGPU.csdata,"",@progbits
; Kernel info:
; codeLenInByte = 836
; TotalNumSgprs: 48
; NumVgprs: 24
; ScratchSize: 0
; MemoryBound: 0
; FloatMode: 240
; IeeeMode: 1
; LDSByteSize: 0 bytes/workgroup (compile time only)
; SGPRBlocks: 5
; VGPRBlocks: 5
; NumSGPRsForWavesPerEU: 48
; NumVGPRsForWavesPerEU: 24
; Occupancy: 10
; WaveLimiterHint : 1
; COMPUTE_PGM_RSRC2:SCRATCH_EN: 0
; COMPUTE_PGM_RSRC2:USER_SGPR: 6
; COMPUTE_PGM_RSRC2:TRAP_HANDLER: 0
; COMPUTE_PGM_RSRC2:TGID_X_EN: 1
; COMPUTE_PGM_RSRC2:TGID_Y_EN: 1
; COMPUTE_PGM_RSRC2:TGID_Z_EN: 1
; COMPUTE_PGM_RSRC2:TIDIG_COMP_CNT: 1
	.section	.text._ZN9rocsolver6v33100L11gemm_kernelI19rocblas_complex_numIdElS3_PKPS3_S4_S6_EEvT0_S7_S7_T1_bT2_lS7_S7_lbT3_lS7_S7_lS8_T4_lS7_S7_l,"axG",@progbits,_ZN9rocsolver6v33100L11gemm_kernelI19rocblas_complex_numIdElS3_PKPS3_S4_S6_EEvT0_S7_S7_T1_bT2_lS7_S7_lbT3_lS7_S7_lS8_T4_lS7_S7_l,comdat
	.globl	_ZN9rocsolver6v33100L11gemm_kernelI19rocblas_complex_numIdElS3_PKPS3_S4_S6_EEvT0_S7_S7_T1_bT2_lS7_S7_lbT3_lS7_S7_lS8_T4_lS7_S7_l ; -- Begin function _ZN9rocsolver6v33100L11gemm_kernelI19rocblas_complex_numIdElS3_PKPS3_S4_S6_EEvT0_S7_S7_T1_bT2_lS7_S7_lbT3_lS7_S7_lS8_T4_lS7_S7_l
	.p2align	8
	.type	_ZN9rocsolver6v33100L11gemm_kernelI19rocblas_complex_numIdElS3_PKPS3_S4_S6_EEvT0_S7_S7_T1_bT2_lS7_S7_lbT3_lS7_S7_lS8_T4_lS7_S7_l,@function
_ZN9rocsolver6v33100L11gemm_kernelI19rocblas_complex_numIdElS3_PKPS3_S4_S6_EEvT0_S7_S7_T1_bT2_lS7_S7_lbT3_lS7_S7_lS8_T4_lS7_S7_l: ; @_ZN9rocsolver6v33100L11gemm_kernelI19rocblas_complex_numIdElS3_PKPS3_S4_S6_EEvT0_S7_S7_T1_bT2_lS7_S7_lbT3_lS7_S7_lS8_T4_lS7_S7_l
; %bb.0:
	s_load_dword s0, s[4:5], 0xcc
	s_load_dwordx8 s[24:31], s[4:5], 0x0
	v_mov_b32_e32 v2, v0
	v_mov_b32_e32 v3, 0
	;; [unrolled: 1-line block ×3, first 2 shown]
	s_waitcnt lgkmcnt(0)
	s_lshr_b32 s2, s0, 16
	s_and_b32 s0, s0, 0xffff
	v_mad_u64_u32 v[4:5], s[0:1], s0, v0, v[2:3]
	v_mov_b32_e32 v2, v3
	v_mov_b32_e32 v0, s7
	v_mad_u64_u32 v[0:1], s[0:1], s2, v0, v[1:2]
	v_cmp_gt_i64_e32 vcc, s[24:25], v[4:5]
	v_cmp_gt_i64_e64 s[0:1], s[26:27], v[0:1]
	s_and_b64 s[0:1], vcc, s[0:1]
	s_and_saveexec_b64 s[2:3], s[0:1]
	s_cbranch_execz .LBB49_6
; %bb.1:
	s_load_dwordx16 s[12:27], s[4:5], 0x60
	s_load_dwordx2 s[10:11], s[4:5], 0x20
	s_mov_b32 s9, 0
	s_lshl_b64 s[0:1], s[8:9], 3
	s_waitcnt lgkmcnt(0)
	s_add_u32 s2, s26, s0
	s_addc_u32 s3, s27, s1
	s_load_dwordx2 s[26:27], s[2:3], 0x0
	v_cmp_lt_i64_e64 s[2:3], s[28:29], 1
	s_and_b64 vcc, exec, s[2:3]
	s_cbranch_vccnz .LBB49_4
; %bb.2:
	s_load_dwordx8 s[36:43], s[4:5], 0x30
	s_load_dword s6, s[4:5], 0x28
	s_load_dword s7, s[4:5], 0x58
	v_mul_lo_u32 v10, s19, v0
	v_mul_lo_u32 v11, s18, v1
	s_waitcnt lgkmcnt(0)
	s_add_u32 s0, s36, s0
	s_addc_u32 s1, s37, s1
	s_load_dwordx2 s[2:3], s[0:1], 0x0
	s_bitcmp1_b32 s6, 0
	s_cselect_b64 vcc, -1, 0
	s_bitcmp1_b32 s7, 0
	v_mul_lo_u32 v6, v5, s40
	v_mul_lo_u32 v7, v4, s41
	v_mad_u64_u32 v[2:3], s[6:7], v4, s40, 0
	s_cselect_b64 s[0:1], -1, 0
	s_lshl_b64 s[6:7], s[38:39], 4
	s_waitcnt lgkmcnt(0)
	s_add_u32 s6, s2, s6
	v_add3_u32 v3, v3, v7, v6
	s_addc_u32 s2, s3, s7
	v_lshlrev_b64 v[2:3], 4, v[2:3]
	v_mov_b32_e32 v9, s2
	v_mad_u64_u32 v[6:7], s[2:3], s18, v0, 0
	v_add_co_u32_e64 v8, s[2:3], s6, v2
	v_addc_co_u32_e64 v9, s[2:3], v9, v3, s[2:3]
	s_mul_i32 s2, s21, s8
	s_mul_hi_u32 s3, s20, s8
	s_add_i32 s3, s3, s2
	s_mul_i32 s2, s20, s8
	s_lshl_b64 s[18:19], s[42:43], 4
	s_lshl_b64 s[2:3], s[2:3], 4
	;; [unrolled: 1-line block ×3, first 2 shown]
	s_add_u32 s6, s12, s6
	v_add3_u32 v7, v7, v11, v10
	s_addc_u32 s7, s13, s7
	v_lshlrev_b64 v[2:3], 4, v[6:7]
	s_add_u32 s2, s6, s2
	s_addc_u32 s3, s7, s3
	v_mov_b32_e32 v6, s3
	v_add_co_u32_e64 v2, s[2:3], s2, v2
	v_addc_co_u32_e64 v3, s[2:3], v6, v3, s[2:3]
	v_add_co_u32_e64 v10, s[2:3], 8, v2
	v_addc_co_u32_e64 v11, s[2:3], 0, v3, s[2:3]
	s_lshl_b64 s[8:9], s[16:17], 4
	v_mov_b32_e32 v2, 0
	v_mov_b32_e32 v6, 0
	;; [unrolled: 1-line block ×6, first 2 shown]
.LBB49_3:                               ; =>This Inner Loop Header: Depth=1
	flat_load_dwordx4 v[14:17], v[8:9]
	global_load_dwordx4 v[18:21], v[10:11], off offset:-8
	s_add_u32 s28, s28, -1
	v_add_co_u32_e64 v10, s[2:3], s8, v10
	v_add_co_u32_e64 v8, s[6:7], s18, v8
	s_addc_u32 s29, s29, -1
	v_addc_co_u32_e64 v9, s[6:7], v9, v12, s[6:7]
	s_cmp_eq_u64 s[28:29], 0
	v_addc_co_u32_e64 v11, s[2:3], v11, v13, s[2:3]
	s_waitcnt vmcnt(0) lgkmcnt(0)
	v_xor_b32_e32 v22, 0x80000000, v17
	v_xor_b32_e32 v23, 0x80000000, v21
	v_cndmask_b32_e32 v17, v17, v22, vcc
	v_cndmask_b32_e64 v21, v21, v23, s[0:1]
	v_mul_f64 v[22:23], v[16:17], v[20:21]
	v_mul_f64 v[16:17], v[16:17], v[18:19]
	v_fma_f64 v[18:19], v[14:15], v[18:19], -v[22:23]
	v_fma_f64 v[14:15], v[14:15], v[20:21], v[16:17]
	v_add_f64 v[6:7], v[6:7], v[18:19]
	v_add_f64 v[2:3], v[2:3], v[14:15]
	s_cbranch_scc0 .LBB49_3
	s_branch .LBB49_5
.LBB49_4:
	v_mov_b32_e32 v2, 0
	v_mov_b32_e32 v6, 0
	;; [unrolled: 1-line block ×4, first 2 shown]
.LBB49_5:
	s_load_dwordx4 s[0:3], s[4:5], 0xa0
	s_load_dwordx2 s[6:7], s[4:5], 0xb0
	s_waitcnt lgkmcnt(0)
	v_mul_lo_u32 v8, v5, s2
	v_mul_lo_u32 v9, v4, s3
	v_mad_u64_u32 v[4:5], s[2:3], v4, s2, 0
	v_mul_lo_u32 v10, v1, s6
	v_mul_lo_u32 v11, v0, s7
	v_mad_u64_u32 v[0:1], s[2:3], v0, s6, 0
	s_lshl_b64 s[0:1], s[0:1], 4
	v_add3_u32 v5, v5, v9, v8
	s_add_u32 s0, s26, s0
	v_lshlrev_b64 v[4:5], 4, v[4:5]
	s_addc_u32 s1, s27, s1
	v_add3_u32 v1, v1, v11, v10
	v_mov_b32_e32 v8, s1
	v_add_co_u32_e32 v4, vcc, s0, v4
	v_lshlrev_b64 v[0:1], 4, v[0:1]
	v_addc_co_u32_e32 v5, vcc, v8, v5, vcc
	v_add_co_u32_e32 v4, vcc, v4, v0
	v_addc_co_u32_e32 v5, vcc, v5, v1, vcc
	flat_load_dwordx4 v[8:11], v[4:5]
	v_mul_f64 v[0:1], s[10:11], v[2:3]
	v_mul_f64 v[2:3], s[30:31], v[2:3]
	v_fma_f64 v[0:1], s[30:31], v[6:7], -v[0:1]
	v_fma_f64 v[2:3], s[10:11], v[6:7], v[2:3]
	s_waitcnt vmcnt(0) lgkmcnt(0)
	v_mul_f64 v[12:13], s[24:25], v[10:11]
	v_mul_f64 v[10:11], s[22:23], v[10:11]
	v_fma_f64 v[6:7], s[22:23], v[8:9], -v[12:13]
	v_fma_f64 v[8:9], s[24:25], v[8:9], v[10:11]
	v_add_f64 v[0:1], v[0:1], v[6:7]
	v_add_f64 v[2:3], v[2:3], v[8:9]
	flat_store_dwordx4 v[4:5], v[0:3]
.LBB49_6:
	s_endpgm
	.section	.rodata,"a",@progbits
	.p2align	6, 0x0
	.amdhsa_kernel _ZN9rocsolver6v33100L11gemm_kernelI19rocblas_complex_numIdElS3_PKPS3_S4_S6_EEvT0_S7_S7_T1_bT2_lS7_S7_lbT3_lS7_S7_lS8_T4_lS7_S7_l
		.amdhsa_group_segment_fixed_size 0
		.amdhsa_private_segment_fixed_size 0
		.amdhsa_kernarg_size 448
		.amdhsa_user_sgpr_count 6
		.amdhsa_user_sgpr_private_segment_buffer 1
		.amdhsa_user_sgpr_dispatch_ptr 0
		.amdhsa_user_sgpr_queue_ptr 0
		.amdhsa_user_sgpr_kernarg_segment_ptr 1
		.amdhsa_user_sgpr_dispatch_id 0
		.amdhsa_user_sgpr_flat_scratch_init 0
		.amdhsa_user_sgpr_private_segment_size 0
		.amdhsa_uses_dynamic_stack 0
		.amdhsa_system_sgpr_private_segment_wavefront_offset 0
		.amdhsa_system_sgpr_workgroup_id_x 1
		.amdhsa_system_sgpr_workgroup_id_y 1
		.amdhsa_system_sgpr_workgroup_id_z 1
		.amdhsa_system_sgpr_workgroup_info 0
		.amdhsa_system_vgpr_workitem_id 1
		.amdhsa_next_free_vgpr 24
		.amdhsa_next_free_sgpr 44
		.amdhsa_reserve_vcc 1
		.amdhsa_reserve_flat_scratch 0
		.amdhsa_float_round_mode_32 0
		.amdhsa_float_round_mode_16_64 0
		.amdhsa_float_denorm_mode_32 3
		.amdhsa_float_denorm_mode_16_64 3
		.amdhsa_dx10_clamp 1
		.amdhsa_ieee_mode 1
		.amdhsa_fp16_overflow 0
		.amdhsa_exception_fp_ieee_invalid_op 0
		.amdhsa_exception_fp_denorm_src 0
		.amdhsa_exception_fp_ieee_div_zero 0
		.amdhsa_exception_fp_ieee_overflow 0
		.amdhsa_exception_fp_ieee_underflow 0
		.amdhsa_exception_fp_ieee_inexact 0
		.amdhsa_exception_int_div_zero 0
	.end_amdhsa_kernel
	.section	.text._ZN9rocsolver6v33100L11gemm_kernelI19rocblas_complex_numIdElS3_PKPS3_S4_S6_EEvT0_S7_S7_T1_bT2_lS7_S7_lbT3_lS7_S7_lS8_T4_lS7_S7_l,"axG",@progbits,_ZN9rocsolver6v33100L11gemm_kernelI19rocblas_complex_numIdElS3_PKPS3_S4_S6_EEvT0_S7_S7_T1_bT2_lS7_S7_lbT3_lS7_S7_lS8_T4_lS7_S7_l,comdat
.Lfunc_end49:
	.size	_ZN9rocsolver6v33100L11gemm_kernelI19rocblas_complex_numIdElS3_PKPS3_S4_S6_EEvT0_S7_S7_T1_bT2_lS7_S7_lbT3_lS7_S7_lS8_T4_lS7_S7_l, .Lfunc_end49-_ZN9rocsolver6v33100L11gemm_kernelI19rocblas_complex_numIdElS3_PKPS3_S4_S6_EEvT0_S7_S7_T1_bT2_lS7_S7_lbT3_lS7_S7_lS8_T4_lS7_S7_l
                                        ; -- End function
	.set _ZN9rocsolver6v33100L11gemm_kernelI19rocblas_complex_numIdElS3_PKPS3_S4_S6_EEvT0_S7_S7_T1_bT2_lS7_S7_lbT3_lS7_S7_lS8_T4_lS7_S7_l.num_vgpr, 24
	.set _ZN9rocsolver6v33100L11gemm_kernelI19rocblas_complex_numIdElS3_PKPS3_S4_S6_EEvT0_S7_S7_T1_bT2_lS7_S7_lbT3_lS7_S7_lS8_T4_lS7_S7_l.num_agpr, 0
	.set _ZN9rocsolver6v33100L11gemm_kernelI19rocblas_complex_numIdElS3_PKPS3_S4_S6_EEvT0_S7_S7_T1_bT2_lS7_S7_lbT3_lS7_S7_lS8_T4_lS7_S7_l.numbered_sgpr, 44
	.set _ZN9rocsolver6v33100L11gemm_kernelI19rocblas_complex_numIdElS3_PKPS3_S4_S6_EEvT0_S7_S7_T1_bT2_lS7_S7_lbT3_lS7_S7_lS8_T4_lS7_S7_l.num_named_barrier, 0
	.set _ZN9rocsolver6v33100L11gemm_kernelI19rocblas_complex_numIdElS3_PKPS3_S4_S6_EEvT0_S7_S7_T1_bT2_lS7_S7_lbT3_lS7_S7_lS8_T4_lS7_S7_l.private_seg_size, 0
	.set _ZN9rocsolver6v33100L11gemm_kernelI19rocblas_complex_numIdElS3_PKPS3_S4_S6_EEvT0_S7_S7_T1_bT2_lS7_S7_lbT3_lS7_S7_lS8_T4_lS7_S7_l.uses_vcc, 1
	.set _ZN9rocsolver6v33100L11gemm_kernelI19rocblas_complex_numIdElS3_PKPS3_S4_S6_EEvT0_S7_S7_T1_bT2_lS7_S7_lbT3_lS7_S7_lS8_T4_lS7_S7_l.uses_flat_scratch, 0
	.set _ZN9rocsolver6v33100L11gemm_kernelI19rocblas_complex_numIdElS3_PKPS3_S4_S6_EEvT0_S7_S7_T1_bT2_lS7_S7_lbT3_lS7_S7_lS8_T4_lS7_S7_l.has_dyn_sized_stack, 0
	.set _ZN9rocsolver6v33100L11gemm_kernelI19rocblas_complex_numIdElS3_PKPS3_S4_S6_EEvT0_S7_S7_T1_bT2_lS7_S7_lbT3_lS7_S7_lS8_T4_lS7_S7_l.has_recursion, 0
	.set _ZN9rocsolver6v33100L11gemm_kernelI19rocblas_complex_numIdElS3_PKPS3_S4_S6_EEvT0_S7_S7_T1_bT2_lS7_S7_lbT3_lS7_S7_lS8_T4_lS7_S7_l.has_indirect_call, 0
	.section	.AMDGPU.csdata,"",@progbits
; Kernel info:
; codeLenInByte = 836
; TotalNumSgprs: 48
; NumVgprs: 24
; ScratchSize: 0
; MemoryBound: 0
; FloatMode: 240
; IeeeMode: 1
; LDSByteSize: 0 bytes/workgroup (compile time only)
; SGPRBlocks: 5
; VGPRBlocks: 5
; NumSGPRsForWavesPerEU: 48
; NumVGPRsForWavesPerEU: 24
; Occupancy: 10
; WaveLimiterHint : 1
; COMPUTE_PGM_RSRC2:SCRATCH_EN: 0
; COMPUTE_PGM_RSRC2:USER_SGPR: 6
; COMPUTE_PGM_RSRC2:TRAP_HANDLER: 0
; COMPUTE_PGM_RSRC2:TGID_X_EN: 1
; COMPUTE_PGM_RSRC2:TGID_Y_EN: 1
; COMPUTE_PGM_RSRC2:TGID_Z_EN: 1
; COMPUTE_PGM_RSRC2:TIDIG_COMP_CNT: 1
	.section	.text._ZN9rocsolver6v33100L16mfma_gemm_kernelI19rocblas_complex_numIdElPKS3_PKPS3_S8_S6_EEv18rocblas_operation_S9_T0_SA_SA_T1_T2_lSA_SA_lT3_lSA_SA_lSB_T4_lSA_SA_l,"axG",@progbits,_ZN9rocsolver6v33100L16mfma_gemm_kernelI19rocblas_complex_numIdElPKS3_PKPS3_S8_S6_EEv18rocblas_operation_S9_T0_SA_SA_T1_T2_lSA_SA_lT3_lSA_SA_lSB_T4_lSA_SA_l,comdat
	.globl	_ZN9rocsolver6v33100L16mfma_gemm_kernelI19rocblas_complex_numIdElPKS3_PKPS3_S8_S6_EEv18rocblas_operation_S9_T0_SA_SA_T1_T2_lSA_SA_lT3_lSA_SA_lSB_T4_lSA_SA_l ; -- Begin function _ZN9rocsolver6v33100L16mfma_gemm_kernelI19rocblas_complex_numIdElPKS3_PKPS3_S8_S6_EEv18rocblas_operation_S9_T0_SA_SA_T1_T2_lSA_SA_lT3_lSA_SA_lSB_T4_lSA_SA_l
	.p2align	8
	.type	_ZN9rocsolver6v33100L16mfma_gemm_kernelI19rocblas_complex_numIdElPKS3_PKPS3_S8_S6_EEv18rocblas_operation_S9_T0_SA_SA_T1_T2_lSA_SA_lT3_lSA_SA_lSB_T4_lSA_SA_l,@function
_ZN9rocsolver6v33100L16mfma_gemm_kernelI19rocblas_complex_numIdElPKS3_PKPS3_S8_S6_EEv18rocblas_operation_S9_T0_SA_SA_T1_T2_lSA_SA_lT3_lSA_SA_lSB_T4_lSA_SA_l: ; @_ZN9rocsolver6v33100L16mfma_gemm_kernelI19rocblas_complex_numIdElPKS3_PKPS3_S8_S6_EEv18rocblas_operation_S9_T0_SA_SA_T1_T2_lSA_SA_lT3_lSA_SA_lSB_T4_lSA_SA_l
; %bb.0:
	s_endpgm
	.section	.rodata,"a",@progbits
	.p2align	6, 0x0
	.amdhsa_kernel _ZN9rocsolver6v33100L16mfma_gemm_kernelI19rocblas_complex_numIdElPKS3_PKPS3_S8_S6_EEv18rocblas_operation_S9_T0_SA_SA_T1_T2_lSA_SA_lT3_lSA_SA_lSB_T4_lSA_SA_l
		.amdhsa_group_segment_fixed_size 0
		.amdhsa_private_segment_fixed_size 0
		.amdhsa_kernarg_size 168
		.amdhsa_user_sgpr_count 6
		.amdhsa_user_sgpr_private_segment_buffer 1
		.amdhsa_user_sgpr_dispatch_ptr 0
		.amdhsa_user_sgpr_queue_ptr 0
		.amdhsa_user_sgpr_kernarg_segment_ptr 1
		.amdhsa_user_sgpr_dispatch_id 0
		.amdhsa_user_sgpr_flat_scratch_init 0
		.amdhsa_user_sgpr_private_segment_size 0
		.amdhsa_uses_dynamic_stack 0
		.amdhsa_system_sgpr_private_segment_wavefront_offset 0
		.amdhsa_system_sgpr_workgroup_id_x 1
		.amdhsa_system_sgpr_workgroup_id_y 0
		.amdhsa_system_sgpr_workgroup_id_z 0
		.amdhsa_system_sgpr_workgroup_info 0
		.amdhsa_system_vgpr_workitem_id 0
		.amdhsa_next_free_vgpr 1
		.amdhsa_next_free_sgpr 0
		.amdhsa_reserve_vcc 0
		.amdhsa_reserve_flat_scratch 0
		.amdhsa_float_round_mode_32 0
		.amdhsa_float_round_mode_16_64 0
		.amdhsa_float_denorm_mode_32 3
		.amdhsa_float_denorm_mode_16_64 3
		.amdhsa_dx10_clamp 1
		.amdhsa_ieee_mode 1
		.amdhsa_fp16_overflow 0
		.amdhsa_exception_fp_ieee_invalid_op 0
		.amdhsa_exception_fp_denorm_src 0
		.amdhsa_exception_fp_ieee_div_zero 0
		.amdhsa_exception_fp_ieee_overflow 0
		.amdhsa_exception_fp_ieee_underflow 0
		.amdhsa_exception_fp_ieee_inexact 0
		.amdhsa_exception_int_div_zero 0
	.end_amdhsa_kernel
	.section	.text._ZN9rocsolver6v33100L16mfma_gemm_kernelI19rocblas_complex_numIdElPKS3_PKPS3_S8_S6_EEv18rocblas_operation_S9_T0_SA_SA_T1_T2_lSA_SA_lT3_lSA_SA_lSB_T4_lSA_SA_l,"axG",@progbits,_ZN9rocsolver6v33100L16mfma_gemm_kernelI19rocblas_complex_numIdElPKS3_PKPS3_S8_S6_EEv18rocblas_operation_S9_T0_SA_SA_T1_T2_lSA_SA_lT3_lSA_SA_lSB_T4_lSA_SA_l,comdat
.Lfunc_end50:
	.size	_ZN9rocsolver6v33100L16mfma_gemm_kernelI19rocblas_complex_numIdElPKS3_PKPS3_S8_S6_EEv18rocblas_operation_S9_T0_SA_SA_T1_T2_lSA_SA_lT3_lSA_SA_lSB_T4_lSA_SA_l, .Lfunc_end50-_ZN9rocsolver6v33100L16mfma_gemm_kernelI19rocblas_complex_numIdElPKS3_PKPS3_S8_S6_EEv18rocblas_operation_S9_T0_SA_SA_T1_T2_lSA_SA_lT3_lSA_SA_lSB_T4_lSA_SA_l
                                        ; -- End function
	.set _ZN9rocsolver6v33100L16mfma_gemm_kernelI19rocblas_complex_numIdElPKS3_PKPS3_S8_S6_EEv18rocblas_operation_S9_T0_SA_SA_T1_T2_lSA_SA_lT3_lSA_SA_lSB_T4_lSA_SA_l.num_vgpr, 0
	.set _ZN9rocsolver6v33100L16mfma_gemm_kernelI19rocblas_complex_numIdElPKS3_PKPS3_S8_S6_EEv18rocblas_operation_S9_T0_SA_SA_T1_T2_lSA_SA_lT3_lSA_SA_lSB_T4_lSA_SA_l.num_agpr, 0
	.set _ZN9rocsolver6v33100L16mfma_gemm_kernelI19rocblas_complex_numIdElPKS3_PKPS3_S8_S6_EEv18rocblas_operation_S9_T0_SA_SA_T1_T2_lSA_SA_lT3_lSA_SA_lSB_T4_lSA_SA_l.numbered_sgpr, 0
	.set _ZN9rocsolver6v33100L16mfma_gemm_kernelI19rocblas_complex_numIdElPKS3_PKPS3_S8_S6_EEv18rocblas_operation_S9_T0_SA_SA_T1_T2_lSA_SA_lT3_lSA_SA_lSB_T4_lSA_SA_l.num_named_barrier, 0
	.set _ZN9rocsolver6v33100L16mfma_gemm_kernelI19rocblas_complex_numIdElPKS3_PKPS3_S8_S6_EEv18rocblas_operation_S9_T0_SA_SA_T1_T2_lSA_SA_lT3_lSA_SA_lSB_T4_lSA_SA_l.private_seg_size, 0
	.set _ZN9rocsolver6v33100L16mfma_gemm_kernelI19rocblas_complex_numIdElPKS3_PKPS3_S8_S6_EEv18rocblas_operation_S9_T0_SA_SA_T1_T2_lSA_SA_lT3_lSA_SA_lSB_T4_lSA_SA_l.uses_vcc, 0
	.set _ZN9rocsolver6v33100L16mfma_gemm_kernelI19rocblas_complex_numIdElPKS3_PKPS3_S8_S6_EEv18rocblas_operation_S9_T0_SA_SA_T1_T2_lSA_SA_lT3_lSA_SA_lSB_T4_lSA_SA_l.uses_flat_scratch, 0
	.set _ZN9rocsolver6v33100L16mfma_gemm_kernelI19rocblas_complex_numIdElPKS3_PKPS3_S8_S6_EEv18rocblas_operation_S9_T0_SA_SA_T1_T2_lSA_SA_lT3_lSA_SA_lSB_T4_lSA_SA_l.has_dyn_sized_stack, 0
	.set _ZN9rocsolver6v33100L16mfma_gemm_kernelI19rocblas_complex_numIdElPKS3_PKPS3_S8_S6_EEv18rocblas_operation_S9_T0_SA_SA_T1_T2_lSA_SA_lT3_lSA_SA_lSB_T4_lSA_SA_l.has_recursion, 0
	.set _ZN9rocsolver6v33100L16mfma_gemm_kernelI19rocblas_complex_numIdElPKS3_PKPS3_S8_S6_EEv18rocblas_operation_S9_T0_SA_SA_T1_T2_lSA_SA_lT3_lSA_SA_lSB_T4_lSA_SA_l.has_indirect_call, 0
	.section	.AMDGPU.csdata,"",@progbits
; Kernel info:
; codeLenInByte = 4
; TotalNumSgprs: 4
; NumVgprs: 0
; ScratchSize: 0
; MemoryBound: 0
; FloatMode: 240
; IeeeMode: 1
; LDSByteSize: 0 bytes/workgroup (compile time only)
; SGPRBlocks: 0
; VGPRBlocks: 0
; NumSGPRsForWavesPerEU: 4
; NumVGPRsForWavesPerEU: 1
; Occupancy: 10
; WaveLimiterHint : 0
; COMPUTE_PGM_RSRC2:SCRATCH_EN: 0
; COMPUTE_PGM_RSRC2:USER_SGPR: 6
; COMPUTE_PGM_RSRC2:TRAP_HANDLER: 0
; COMPUTE_PGM_RSRC2:TGID_X_EN: 1
; COMPUTE_PGM_RSRC2:TGID_Y_EN: 0
; COMPUTE_PGM_RSRC2:TGID_Z_EN: 0
; COMPUTE_PGM_RSRC2:TIDIG_COMP_CNT: 0
	.section	.text._ZN9rocsolver6v33100L16mfma_gemm_kernelI19rocblas_complex_numIdElS3_PKPS3_S6_S4_EEv18rocblas_operation_S7_T0_S8_S8_T1_T2_lS8_S8_lT3_lS8_S8_lS9_T4_lS8_S8_l,"axG",@progbits,_ZN9rocsolver6v33100L16mfma_gemm_kernelI19rocblas_complex_numIdElS3_PKPS3_S6_S4_EEv18rocblas_operation_S7_T0_S8_S8_T1_T2_lS8_S8_lT3_lS8_S8_lS9_T4_lS8_S8_l,comdat
	.globl	_ZN9rocsolver6v33100L16mfma_gemm_kernelI19rocblas_complex_numIdElS3_PKPS3_S6_S4_EEv18rocblas_operation_S7_T0_S8_S8_T1_T2_lS8_S8_lT3_lS8_S8_lS9_T4_lS8_S8_l ; -- Begin function _ZN9rocsolver6v33100L16mfma_gemm_kernelI19rocblas_complex_numIdElS3_PKPS3_S6_S4_EEv18rocblas_operation_S7_T0_S8_S8_T1_T2_lS8_S8_lT3_lS8_S8_lS9_T4_lS8_S8_l
	.p2align	8
	.type	_ZN9rocsolver6v33100L16mfma_gemm_kernelI19rocblas_complex_numIdElS3_PKPS3_S6_S4_EEv18rocblas_operation_S7_T0_S8_S8_T1_T2_lS8_S8_lT3_lS8_S8_lS9_T4_lS8_S8_l,@function
_ZN9rocsolver6v33100L16mfma_gemm_kernelI19rocblas_complex_numIdElS3_PKPS3_S6_S4_EEv18rocblas_operation_S7_T0_S8_S8_T1_T2_lS8_S8_lT3_lS8_S8_lS9_T4_lS8_S8_l: ; @_ZN9rocsolver6v33100L16mfma_gemm_kernelI19rocblas_complex_numIdElS3_PKPS3_S6_S4_EEv18rocblas_operation_S7_T0_S8_S8_T1_T2_lS8_S8_lT3_lS8_S8_lS9_T4_lS8_S8_l
; %bb.0:
	s_endpgm
	.section	.rodata,"a",@progbits
	.p2align	6, 0x0
	.amdhsa_kernel _ZN9rocsolver6v33100L16mfma_gemm_kernelI19rocblas_complex_numIdElS3_PKPS3_S6_S4_EEv18rocblas_operation_S7_T0_S8_S8_T1_T2_lS8_S8_lT3_lS8_S8_lS9_T4_lS8_S8_l
		.amdhsa_group_segment_fixed_size 0
		.amdhsa_private_segment_fixed_size 0
		.amdhsa_kernarg_size 184
		.amdhsa_user_sgpr_count 6
		.amdhsa_user_sgpr_private_segment_buffer 1
		.amdhsa_user_sgpr_dispatch_ptr 0
		.amdhsa_user_sgpr_queue_ptr 0
		.amdhsa_user_sgpr_kernarg_segment_ptr 1
		.amdhsa_user_sgpr_dispatch_id 0
		.amdhsa_user_sgpr_flat_scratch_init 0
		.amdhsa_user_sgpr_private_segment_size 0
		.amdhsa_uses_dynamic_stack 0
		.amdhsa_system_sgpr_private_segment_wavefront_offset 0
		.amdhsa_system_sgpr_workgroup_id_x 1
		.amdhsa_system_sgpr_workgroup_id_y 0
		.amdhsa_system_sgpr_workgroup_id_z 0
		.amdhsa_system_sgpr_workgroup_info 0
		.amdhsa_system_vgpr_workitem_id 0
		.amdhsa_next_free_vgpr 1
		.amdhsa_next_free_sgpr 0
		.amdhsa_reserve_vcc 0
		.amdhsa_reserve_flat_scratch 0
		.amdhsa_float_round_mode_32 0
		.amdhsa_float_round_mode_16_64 0
		.amdhsa_float_denorm_mode_32 3
		.amdhsa_float_denorm_mode_16_64 3
		.amdhsa_dx10_clamp 1
		.amdhsa_ieee_mode 1
		.amdhsa_fp16_overflow 0
		.amdhsa_exception_fp_ieee_invalid_op 0
		.amdhsa_exception_fp_denorm_src 0
		.amdhsa_exception_fp_ieee_div_zero 0
		.amdhsa_exception_fp_ieee_overflow 0
		.amdhsa_exception_fp_ieee_underflow 0
		.amdhsa_exception_fp_ieee_inexact 0
		.amdhsa_exception_int_div_zero 0
	.end_amdhsa_kernel
	.section	.text._ZN9rocsolver6v33100L16mfma_gemm_kernelI19rocblas_complex_numIdElS3_PKPS3_S6_S4_EEv18rocblas_operation_S7_T0_S8_S8_T1_T2_lS8_S8_lT3_lS8_S8_lS9_T4_lS8_S8_l,"axG",@progbits,_ZN9rocsolver6v33100L16mfma_gemm_kernelI19rocblas_complex_numIdElS3_PKPS3_S6_S4_EEv18rocblas_operation_S7_T0_S8_S8_T1_T2_lS8_S8_lT3_lS8_S8_lS9_T4_lS8_S8_l,comdat
.Lfunc_end51:
	.size	_ZN9rocsolver6v33100L16mfma_gemm_kernelI19rocblas_complex_numIdElS3_PKPS3_S6_S4_EEv18rocblas_operation_S7_T0_S8_S8_T1_T2_lS8_S8_lT3_lS8_S8_lS9_T4_lS8_S8_l, .Lfunc_end51-_ZN9rocsolver6v33100L16mfma_gemm_kernelI19rocblas_complex_numIdElS3_PKPS3_S6_S4_EEv18rocblas_operation_S7_T0_S8_S8_T1_T2_lS8_S8_lT3_lS8_S8_lS9_T4_lS8_S8_l
                                        ; -- End function
	.set _ZN9rocsolver6v33100L16mfma_gemm_kernelI19rocblas_complex_numIdElS3_PKPS3_S6_S4_EEv18rocblas_operation_S7_T0_S8_S8_T1_T2_lS8_S8_lT3_lS8_S8_lS9_T4_lS8_S8_l.num_vgpr, 0
	.set _ZN9rocsolver6v33100L16mfma_gemm_kernelI19rocblas_complex_numIdElS3_PKPS3_S6_S4_EEv18rocblas_operation_S7_T0_S8_S8_T1_T2_lS8_S8_lT3_lS8_S8_lS9_T4_lS8_S8_l.num_agpr, 0
	.set _ZN9rocsolver6v33100L16mfma_gemm_kernelI19rocblas_complex_numIdElS3_PKPS3_S6_S4_EEv18rocblas_operation_S7_T0_S8_S8_T1_T2_lS8_S8_lT3_lS8_S8_lS9_T4_lS8_S8_l.numbered_sgpr, 0
	.set _ZN9rocsolver6v33100L16mfma_gemm_kernelI19rocblas_complex_numIdElS3_PKPS3_S6_S4_EEv18rocblas_operation_S7_T0_S8_S8_T1_T2_lS8_S8_lT3_lS8_S8_lS9_T4_lS8_S8_l.num_named_barrier, 0
	.set _ZN9rocsolver6v33100L16mfma_gemm_kernelI19rocblas_complex_numIdElS3_PKPS3_S6_S4_EEv18rocblas_operation_S7_T0_S8_S8_T1_T2_lS8_S8_lT3_lS8_S8_lS9_T4_lS8_S8_l.private_seg_size, 0
	.set _ZN9rocsolver6v33100L16mfma_gemm_kernelI19rocblas_complex_numIdElS3_PKPS3_S6_S4_EEv18rocblas_operation_S7_T0_S8_S8_T1_T2_lS8_S8_lT3_lS8_S8_lS9_T4_lS8_S8_l.uses_vcc, 0
	.set _ZN9rocsolver6v33100L16mfma_gemm_kernelI19rocblas_complex_numIdElS3_PKPS3_S6_S4_EEv18rocblas_operation_S7_T0_S8_S8_T1_T2_lS8_S8_lT3_lS8_S8_lS9_T4_lS8_S8_l.uses_flat_scratch, 0
	.set _ZN9rocsolver6v33100L16mfma_gemm_kernelI19rocblas_complex_numIdElS3_PKPS3_S6_S4_EEv18rocblas_operation_S7_T0_S8_S8_T1_T2_lS8_S8_lT3_lS8_S8_lS9_T4_lS8_S8_l.has_dyn_sized_stack, 0
	.set _ZN9rocsolver6v33100L16mfma_gemm_kernelI19rocblas_complex_numIdElS3_PKPS3_S6_S4_EEv18rocblas_operation_S7_T0_S8_S8_T1_T2_lS8_S8_lT3_lS8_S8_lS9_T4_lS8_S8_l.has_recursion, 0
	.set _ZN9rocsolver6v33100L16mfma_gemm_kernelI19rocblas_complex_numIdElS3_PKPS3_S6_S4_EEv18rocblas_operation_S7_T0_S8_S8_T1_T2_lS8_S8_lT3_lS8_S8_lS9_T4_lS8_S8_l.has_indirect_call, 0
	.section	.AMDGPU.csdata,"",@progbits
; Kernel info:
; codeLenInByte = 4
; TotalNumSgprs: 4
; NumVgprs: 0
; ScratchSize: 0
; MemoryBound: 0
; FloatMode: 240
; IeeeMode: 1
; LDSByteSize: 0 bytes/workgroup (compile time only)
; SGPRBlocks: 0
; VGPRBlocks: 0
; NumSGPRsForWavesPerEU: 4
; NumVGPRsForWavesPerEU: 1
; Occupancy: 10
; WaveLimiterHint : 0
; COMPUTE_PGM_RSRC2:SCRATCH_EN: 0
; COMPUTE_PGM_RSRC2:USER_SGPR: 6
; COMPUTE_PGM_RSRC2:TRAP_HANDLER: 0
; COMPUTE_PGM_RSRC2:TGID_X_EN: 1
; COMPUTE_PGM_RSRC2:TGID_Y_EN: 0
; COMPUTE_PGM_RSRC2:TGID_Z_EN: 0
; COMPUTE_PGM_RSRC2:TIDIG_COMP_CNT: 0
	.section	.text._ZN9rocsolver6v33100L11gemm_kernelI19rocblas_complex_numIdElPKS3_PKPS3_S8_S6_EEvT0_S9_S9_T1_bT2_lS9_S9_lbT3_lS9_S9_lSA_T4_lS9_S9_l,"axG",@progbits,_ZN9rocsolver6v33100L11gemm_kernelI19rocblas_complex_numIdElPKS3_PKPS3_S8_S6_EEvT0_S9_S9_T1_bT2_lS9_S9_lbT3_lS9_S9_lSA_T4_lS9_S9_l,comdat
	.globl	_ZN9rocsolver6v33100L11gemm_kernelI19rocblas_complex_numIdElPKS3_PKPS3_S8_S6_EEvT0_S9_S9_T1_bT2_lS9_S9_lbT3_lS9_S9_lSA_T4_lS9_S9_l ; -- Begin function _ZN9rocsolver6v33100L11gemm_kernelI19rocblas_complex_numIdElPKS3_PKPS3_S8_S6_EEvT0_S9_S9_T1_bT2_lS9_S9_lbT3_lS9_S9_lSA_T4_lS9_S9_l
	.p2align	8
	.type	_ZN9rocsolver6v33100L11gemm_kernelI19rocblas_complex_numIdElPKS3_PKPS3_S8_S6_EEvT0_S9_S9_T1_bT2_lS9_S9_lbT3_lS9_S9_lSA_T4_lS9_S9_l,@function
_ZN9rocsolver6v33100L11gemm_kernelI19rocblas_complex_numIdElPKS3_PKPS3_S8_S6_EEvT0_S9_S9_T1_bT2_lS9_S9_lbT3_lS9_S9_lSA_T4_lS9_S9_l: ; @_ZN9rocsolver6v33100L11gemm_kernelI19rocblas_complex_numIdElPKS3_PKPS3_S8_S6_EEvT0_S9_S9_T1_bT2_lS9_S9_lbT3_lS9_S9_lSA_T4_lS9_S9_l
; %bb.0:
	s_load_dword s0, s[4:5], 0xbc
	s_load_dwordx8 s[16:23], s[4:5], 0x0
	v_mov_b32_e32 v2, v0
	v_mov_b32_e32 v3, 0
	;; [unrolled: 1-line block ×3, first 2 shown]
	s_waitcnt lgkmcnt(0)
	s_lshr_b32 s2, s0, 16
	s_and_b32 s0, s0, 0xffff
	v_mad_u64_u32 v[4:5], s[0:1], s0, v0, v[2:3]
	v_mov_b32_e32 v2, v3
	v_mov_b32_e32 v0, s7
	v_mad_u64_u32 v[0:1], s[0:1], s2, v0, v[1:2]
	v_cmp_gt_i64_e32 vcc, s[16:17], v[4:5]
	v_cmp_gt_i64_e64 s[0:1], s[18:19], v[0:1]
	s_and_b64 s[0:1], vcc, s[0:1]
	s_and_saveexec_b64 s[2:3], s[0:1]
	s_cbranch_execz .LBB52_6
; %bb.1:
	s_load_dwordx8 s[12:19], s[4:5], 0x80
	s_load_dwordx4 s[44:47], s[4:5], 0xa0
	v_cmp_lt_i64_e64 s[0:1], s[20:21], 1
	s_mov_b32 s9, 0
	s_and_b64 vcc, exec, s[0:1]
	s_cbranch_vccnz .LBB52_4
; %bb.2:
	s_load_dwordx8 s[24:31], s[4:5], 0x28
	s_load_dword s6, s[4:5], 0x20
	s_load_dword s7, s[4:5], 0x50
	s_load_dwordx8 s[36:43], s[4:5], 0x58
	s_lshl_b64 s[0:1], s[8:9], 3
	s_waitcnt lgkmcnt(0)
	s_add_u32 s2, s24, s0
	s_addc_u32 s3, s25, s1
	s_load_dwordx2 s[2:3], s[2:3], 0x0
	s_add_u32 s0, s36, s0
	s_addc_u32 s1, s37, s1
	s_bitcmp1_b32 s6, 0
	s_cselect_b64 vcc, -1, 0
	s_bitcmp1_b32 s7, 0
	s_load_dwordx2 s[4:5], s[0:1], 0x0
	s_cselect_b64 s[0:1], -1, 0
	s_lshl_b64 s[6:7], s[26:27], 4
	s_waitcnt lgkmcnt(0)
	s_add_u32 s6, s2, s6
	s_addc_u32 s7, s3, s7
	v_mul_lo_u32 v6, v5, s28
	v_mul_lo_u32 v7, v4, s29
	v_mad_u64_u32 v[2:3], s[2:3], v4, s28, 0
	s_lshl_b64 s[2:3], s[38:39], 4
	s_add_u32 s4, s4, s2
	s_addc_u32 s5, s5, s3
	v_add3_u32 v3, v3, v7, v6
	v_mul_lo_u32 v10, v1, s42
	v_mul_lo_u32 v11, v0, s43
	v_mad_u64_u32 v[6:7], s[2:3], v0, s42, 0
	v_lshlrev_b64 v[2:3], 4, v[2:3]
	v_mov_b32_e32 v9, s7
	v_add_co_u32_e64 v8, s[2:3], s6, v2
	v_add3_u32 v7, v7, v11, v10
	v_addc_co_u32_e64 v9, s[2:3], v9, v3, s[2:3]
	v_lshlrev_b64 v[2:3], 4, v[6:7]
	v_mov_b32_e32 v6, s5
	v_add_co_u32_e64 v10, s[2:3], s4, v2
	v_addc_co_u32_e64 v11, s[2:3], v6, v3, s[2:3]
	s_lshl_b64 s[6:7], s[40:41], 4
	s_lshl_b64 s[10:11], s[30:31], 4
	v_mov_b32_e32 v2, 0
	v_mov_b32_e32 v6, 0
	;; [unrolled: 1-line block ×6, first 2 shown]
.LBB52_3:                               ; =>This Inner Loop Header: Depth=1
	flat_load_dwordx4 v[14:17], v[8:9]
	flat_load_dwordx4 v[18:21], v[10:11]
	s_add_u32 s20, s20, -1
	v_add_co_u32_e64 v8, s[2:3], s10, v8
	v_add_co_u32_e64 v10, s[4:5], s6, v10
	s_addc_u32 s21, s21, -1
	v_addc_co_u32_e64 v11, s[4:5], v11, v12, s[4:5]
	s_cmp_eq_u64 s[20:21], 0
	v_addc_co_u32_e64 v9, s[2:3], v9, v13, s[2:3]
	s_waitcnt vmcnt(0) lgkmcnt(0)
	v_xor_b32_e32 v22, 0x80000000, v17
	v_xor_b32_e32 v23, 0x80000000, v21
	v_cndmask_b32_e32 v17, v17, v22, vcc
	v_cndmask_b32_e64 v21, v21, v23, s[0:1]
	v_mul_f64 v[22:23], v[16:17], v[20:21]
	v_mul_f64 v[16:17], v[16:17], v[18:19]
	v_fma_f64 v[18:19], v[14:15], v[18:19], -v[22:23]
	v_fma_f64 v[14:15], v[14:15], v[20:21], v[16:17]
	v_add_f64 v[6:7], v[6:7], v[18:19]
	v_add_f64 v[2:3], v[2:3], v[14:15]
	s_cbranch_scc0 .LBB52_3
	s_branch .LBB52_5
.LBB52_4:
	v_mov_b32_e32 v2, 0
	v_mov_b32_e32 v6, 0
	;; [unrolled: 1-line block ×4, first 2 shown]
.LBB52_5:
	s_waitcnt lgkmcnt(0)
	s_mul_i32 s9, s47, s8
	s_mul_hi_u32 s10, s46, s8
	s_add_i32 s9, s10, s9
	v_mul_lo_u32 v8, v5, s18
	v_mul_lo_u32 v9, v4, s19
	v_mad_u64_u32 v[4:5], s[10:11], v4, s18, 0
	s_mul_i32 s8, s46, s8
	s_lshl_b64 s[8:9], s[8:9], 4
	v_mul_lo_u32 v10, v1, s44
	v_mul_lo_u32 v11, v0, s45
	v_mad_u64_u32 v[0:1], s[10:11], v0, s44, 0
	s_load_dwordx4 s[4:7], s[22:23], 0x0
	s_load_dwordx4 s[0:3], s[12:13], 0x0
	s_add_u32 s12, s14, s8
	s_addc_u32 s13, s15, s9
	s_lshl_b64 s[8:9], s[16:17], 4
	v_add3_u32 v5, v5, v9, v8
	s_add_u32 s8, s12, s8
	v_lshlrev_b64 v[4:5], 4, v[4:5]
	s_addc_u32 s9, s13, s9
	v_add3_u32 v1, v1, v11, v10
	v_mov_b32_e32 v8, s9
	v_add_co_u32_e32 v4, vcc, s8, v4
	v_lshlrev_b64 v[0:1], 4, v[0:1]
	v_addc_co_u32_e32 v5, vcc, v8, v5, vcc
	v_add_co_u32_e32 v4, vcc, v4, v0
	v_addc_co_u32_e32 v5, vcc, v5, v1, vcc
	global_load_dwordx4 v[8:11], v[4:5], off
	s_waitcnt lgkmcnt(0)
	v_mul_f64 v[0:1], s[6:7], v[2:3]
	v_mul_f64 v[2:3], s[4:5], v[2:3]
	v_fma_f64 v[0:1], s[4:5], v[6:7], -v[0:1]
	v_fma_f64 v[2:3], s[6:7], v[6:7], v[2:3]
	s_waitcnt vmcnt(0)
	v_mul_f64 v[12:13], s[2:3], v[10:11]
	v_mul_f64 v[10:11], s[0:1], v[10:11]
	v_fma_f64 v[6:7], s[0:1], v[8:9], -v[12:13]
	v_fma_f64 v[8:9], s[2:3], v[8:9], v[10:11]
	v_add_f64 v[0:1], v[0:1], v[6:7]
	v_add_f64 v[2:3], v[2:3], v[8:9]
	global_store_dwordx4 v[4:5], v[0:3], off
.LBB52_6:
	s_endpgm
	.section	.rodata,"a",@progbits
	.p2align	6, 0x0
	.amdhsa_kernel _ZN9rocsolver6v33100L11gemm_kernelI19rocblas_complex_numIdElPKS3_PKPS3_S8_S6_EEvT0_S9_S9_T1_bT2_lS9_S9_lbT3_lS9_S9_lSA_T4_lS9_S9_l
		.amdhsa_group_segment_fixed_size 0
		.amdhsa_private_segment_fixed_size 0
		.amdhsa_kernarg_size 432
		.amdhsa_user_sgpr_count 6
		.amdhsa_user_sgpr_private_segment_buffer 1
		.amdhsa_user_sgpr_dispatch_ptr 0
		.amdhsa_user_sgpr_queue_ptr 0
		.amdhsa_user_sgpr_kernarg_segment_ptr 1
		.amdhsa_user_sgpr_dispatch_id 0
		.amdhsa_user_sgpr_flat_scratch_init 0
		.amdhsa_user_sgpr_private_segment_size 0
		.amdhsa_uses_dynamic_stack 0
		.amdhsa_system_sgpr_private_segment_wavefront_offset 0
		.amdhsa_system_sgpr_workgroup_id_x 1
		.amdhsa_system_sgpr_workgroup_id_y 1
		.amdhsa_system_sgpr_workgroup_id_z 1
		.amdhsa_system_sgpr_workgroup_info 0
		.amdhsa_system_vgpr_workitem_id 1
		.amdhsa_next_free_vgpr 24
		.amdhsa_next_free_sgpr 48
		.amdhsa_reserve_vcc 1
		.amdhsa_reserve_flat_scratch 0
		.amdhsa_float_round_mode_32 0
		.amdhsa_float_round_mode_16_64 0
		.amdhsa_float_denorm_mode_32 3
		.amdhsa_float_denorm_mode_16_64 3
		.amdhsa_dx10_clamp 1
		.amdhsa_ieee_mode 1
		.amdhsa_fp16_overflow 0
		.amdhsa_exception_fp_ieee_invalid_op 0
		.amdhsa_exception_fp_denorm_src 0
		.amdhsa_exception_fp_ieee_div_zero 0
		.amdhsa_exception_fp_ieee_overflow 0
		.amdhsa_exception_fp_ieee_underflow 0
		.amdhsa_exception_fp_ieee_inexact 0
		.amdhsa_exception_int_div_zero 0
	.end_amdhsa_kernel
	.section	.text._ZN9rocsolver6v33100L11gemm_kernelI19rocblas_complex_numIdElPKS3_PKPS3_S8_S6_EEvT0_S9_S9_T1_bT2_lS9_S9_lbT3_lS9_S9_lSA_T4_lS9_S9_l,"axG",@progbits,_ZN9rocsolver6v33100L11gemm_kernelI19rocblas_complex_numIdElPKS3_PKPS3_S8_S6_EEvT0_S9_S9_T1_bT2_lS9_S9_lbT3_lS9_S9_lSA_T4_lS9_S9_l,comdat
.Lfunc_end52:
	.size	_ZN9rocsolver6v33100L11gemm_kernelI19rocblas_complex_numIdElPKS3_PKPS3_S8_S6_EEvT0_S9_S9_T1_bT2_lS9_S9_lbT3_lS9_S9_lSA_T4_lS9_S9_l, .Lfunc_end52-_ZN9rocsolver6v33100L11gemm_kernelI19rocblas_complex_numIdElPKS3_PKPS3_S8_S6_EEvT0_S9_S9_T1_bT2_lS9_S9_lbT3_lS9_S9_lSA_T4_lS9_S9_l
                                        ; -- End function
	.set _ZN9rocsolver6v33100L11gemm_kernelI19rocblas_complex_numIdElPKS3_PKPS3_S8_S6_EEvT0_S9_S9_T1_bT2_lS9_S9_lbT3_lS9_S9_lSA_T4_lS9_S9_l.num_vgpr, 24
	.set _ZN9rocsolver6v33100L11gemm_kernelI19rocblas_complex_numIdElPKS3_PKPS3_S8_S6_EEvT0_S9_S9_T1_bT2_lS9_S9_lbT3_lS9_S9_lSA_T4_lS9_S9_l.num_agpr, 0
	.set _ZN9rocsolver6v33100L11gemm_kernelI19rocblas_complex_numIdElPKS3_PKPS3_S8_S6_EEvT0_S9_S9_T1_bT2_lS9_S9_lbT3_lS9_S9_lSA_T4_lS9_S9_l.numbered_sgpr, 48
	.set _ZN9rocsolver6v33100L11gemm_kernelI19rocblas_complex_numIdElPKS3_PKPS3_S8_S6_EEvT0_S9_S9_T1_bT2_lS9_S9_lbT3_lS9_S9_lSA_T4_lS9_S9_l.num_named_barrier, 0
	.set _ZN9rocsolver6v33100L11gemm_kernelI19rocblas_complex_numIdElPKS3_PKPS3_S8_S6_EEvT0_S9_S9_T1_bT2_lS9_S9_lbT3_lS9_S9_lSA_T4_lS9_S9_l.private_seg_size, 0
	.set _ZN9rocsolver6v33100L11gemm_kernelI19rocblas_complex_numIdElPKS3_PKPS3_S8_S6_EEvT0_S9_S9_T1_bT2_lS9_S9_lbT3_lS9_S9_lSA_T4_lS9_S9_l.uses_vcc, 1
	.set _ZN9rocsolver6v33100L11gemm_kernelI19rocblas_complex_numIdElPKS3_PKPS3_S8_S6_EEvT0_S9_S9_T1_bT2_lS9_S9_lbT3_lS9_S9_lSA_T4_lS9_S9_l.uses_flat_scratch, 0
	.set _ZN9rocsolver6v33100L11gemm_kernelI19rocblas_complex_numIdElPKS3_PKPS3_S8_S6_EEvT0_S9_S9_T1_bT2_lS9_S9_lbT3_lS9_S9_lSA_T4_lS9_S9_l.has_dyn_sized_stack, 0
	.set _ZN9rocsolver6v33100L11gemm_kernelI19rocblas_complex_numIdElPKS3_PKPS3_S8_S6_EEvT0_S9_S9_T1_bT2_lS9_S9_lbT3_lS9_S9_lSA_T4_lS9_S9_l.has_recursion, 0
	.set _ZN9rocsolver6v33100L11gemm_kernelI19rocblas_complex_numIdElPKS3_PKPS3_S8_S6_EEvT0_S9_S9_T1_bT2_lS9_S9_lbT3_lS9_S9_lSA_T4_lS9_S9_l.has_indirect_call, 0
	.section	.AMDGPU.csdata,"",@progbits
; Kernel info:
; codeLenInByte = 828
; TotalNumSgprs: 52
; NumVgprs: 24
; ScratchSize: 0
; MemoryBound: 0
; FloatMode: 240
; IeeeMode: 1
; LDSByteSize: 0 bytes/workgroup (compile time only)
; SGPRBlocks: 6
; VGPRBlocks: 5
; NumSGPRsForWavesPerEU: 52
; NumVGPRsForWavesPerEU: 24
; Occupancy: 10
; WaveLimiterHint : 0
; COMPUTE_PGM_RSRC2:SCRATCH_EN: 0
; COMPUTE_PGM_RSRC2:USER_SGPR: 6
; COMPUTE_PGM_RSRC2:TRAP_HANDLER: 0
; COMPUTE_PGM_RSRC2:TGID_X_EN: 1
; COMPUTE_PGM_RSRC2:TGID_Y_EN: 1
; COMPUTE_PGM_RSRC2:TGID_Z_EN: 1
; COMPUTE_PGM_RSRC2:TIDIG_COMP_CNT: 1
	.section	.text._ZN9rocsolver6v33100L11gemm_kernelI19rocblas_complex_numIdElS3_PKPS3_S6_S4_EEvT0_S7_S7_T1_bT2_lS7_S7_lbT3_lS7_S7_lS8_T4_lS7_S7_l,"axG",@progbits,_ZN9rocsolver6v33100L11gemm_kernelI19rocblas_complex_numIdElS3_PKPS3_S6_S4_EEvT0_S7_S7_T1_bT2_lS7_S7_lbT3_lS7_S7_lS8_T4_lS7_S7_l,comdat
	.globl	_ZN9rocsolver6v33100L11gemm_kernelI19rocblas_complex_numIdElS3_PKPS3_S6_S4_EEvT0_S7_S7_T1_bT2_lS7_S7_lbT3_lS7_S7_lS8_T4_lS7_S7_l ; -- Begin function _ZN9rocsolver6v33100L11gemm_kernelI19rocblas_complex_numIdElS3_PKPS3_S6_S4_EEvT0_S7_S7_T1_bT2_lS7_S7_lbT3_lS7_S7_lS8_T4_lS7_S7_l
	.p2align	8
	.type	_ZN9rocsolver6v33100L11gemm_kernelI19rocblas_complex_numIdElS3_PKPS3_S6_S4_EEvT0_S7_S7_T1_bT2_lS7_S7_lbT3_lS7_S7_lS8_T4_lS7_S7_l,@function
_ZN9rocsolver6v33100L11gemm_kernelI19rocblas_complex_numIdElS3_PKPS3_S6_S4_EEvT0_S7_S7_T1_bT2_lS7_S7_lbT3_lS7_S7_lS8_T4_lS7_S7_l: ; @_ZN9rocsolver6v33100L11gemm_kernelI19rocblas_complex_numIdElS3_PKPS3_S6_S4_EEvT0_S7_S7_T1_bT2_lS7_S7_lbT3_lS7_S7_lS8_T4_lS7_S7_l
; %bb.0:
	s_load_dword s0, s[4:5], 0xcc
	s_load_dwordx8 s[12:19], s[4:5], 0x0
	v_mov_b32_e32 v2, v0
	v_mov_b32_e32 v3, 0
	;; [unrolled: 1-line block ×3, first 2 shown]
	s_waitcnt lgkmcnt(0)
	s_lshr_b32 s2, s0, 16
	s_and_b32 s0, s0, 0xffff
	v_mad_u64_u32 v[4:5], s[0:1], s0, v0, v[2:3]
	v_mov_b32_e32 v2, v3
	v_mov_b32_e32 v0, s7
	v_mad_u64_u32 v[0:1], s[0:1], s2, v0, v[1:2]
	v_cmp_gt_i64_e32 vcc, s[12:13], v[4:5]
	v_cmp_gt_i64_e64 s[0:1], s[14:15], v[0:1]
	s_and_b64 s[0:1], vcc, s[0:1]
	s_and_saveexec_b64 s[2:3], s[0:1]
	s_cbranch_execz .LBB53_6
; %bb.1:
	s_load_dwordx2 s[6:7], s[4:5], 0x20
	s_load_dwordx8 s[20:27], s[4:5], 0x88
	s_load_dwordx4 s[12:15], s[4:5], 0xa8
	s_load_dwordx2 s[10:11], s[4:5], 0xb8
	v_cmp_lt_i64_e64 s[0:1], s[16:17], 1
	s_mov_b32 s9, 0
	s_and_b64 vcc, exec, s[0:1]
	s_cbranch_vccnz .LBB53_4
; %bb.2:
	s_load_dwordx8 s[36:43], s[4:5], 0x30
	s_load_dword s28, s[4:5], 0x28
	s_load_dword s29, s[4:5], 0x58
	s_load_dwordx8 s[44:51], s[4:5], 0x60
	s_lshl_b64 s[0:1], s[8:9], 3
	s_waitcnt lgkmcnt(0)
	s_add_u32 s2, s36, s0
	s_addc_u32 s3, s37, s1
	s_load_dwordx2 s[2:3], s[2:3], 0x0
	s_add_u32 s0, s44, s0
	s_addc_u32 s1, s45, s1
	s_bitcmp1_b32 s28, 0
	s_cselect_b64 vcc, -1, 0
	s_bitcmp1_b32 s29, 0
	s_load_dwordx2 s[4:5], s[0:1], 0x0
	s_cselect_b64 s[0:1], -1, 0
	s_lshl_b64 s[28:29], s[38:39], 4
	s_waitcnt lgkmcnt(0)
	s_add_u32 s9, s2, s28
	s_addc_u32 s28, s3, s29
	v_mul_lo_u32 v6, v5, s40
	v_mul_lo_u32 v7, v4, s41
	v_mad_u64_u32 v[2:3], s[2:3], v4, s40, 0
	s_lshl_b64 s[2:3], s[46:47], 4
	s_add_u32 s4, s4, s2
	s_addc_u32 s5, s5, s3
	v_add3_u32 v3, v3, v7, v6
	v_mul_lo_u32 v10, v1, s50
	v_mul_lo_u32 v11, v0, s51
	v_mad_u64_u32 v[6:7], s[2:3], v0, s50, 0
	v_lshlrev_b64 v[2:3], 4, v[2:3]
	v_mov_b32_e32 v9, s28
	v_add_co_u32_e64 v8, s[2:3], s9, v2
	v_add3_u32 v7, v7, v11, v10
	v_addc_co_u32_e64 v9, s[2:3], v9, v3, s[2:3]
	v_lshlrev_b64 v[2:3], 4, v[6:7]
	v_mov_b32_e32 v6, s5
	v_add_co_u32_e64 v10, s[2:3], s4, v2
	v_addc_co_u32_e64 v11, s[2:3], v6, v3, s[2:3]
	s_lshl_b64 s[28:29], s[48:49], 4
	s_lshl_b64 s[30:31], s[42:43], 4
	v_mov_b32_e32 v2, 0
	v_mov_b32_e32 v6, 0
	;; [unrolled: 1-line block ×6, first 2 shown]
.LBB53_3:                               ; =>This Inner Loop Header: Depth=1
	flat_load_dwordx4 v[14:17], v[8:9]
	flat_load_dwordx4 v[18:21], v[10:11]
	s_add_u32 s16, s16, -1
	v_add_co_u32_e64 v8, s[2:3], s30, v8
	v_add_co_u32_e64 v10, s[4:5], s28, v10
	s_addc_u32 s17, s17, -1
	v_addc_co_u32_e64 v11, s[4:5], v11, v12, s[4:5]
	s_cmp_eq_u64 s[16:17], 0
	v_addc_co_u32_e64 v9, s[2:3], v9, v13, s[2:3]
	s_waitcnt vmcnt(0) lgkmcnt(0)
	v_xor_b32_e32 v22, 0x80000000, v17
	v_xor_b32_e32 v23, 0x80000000, v21
	v_cndmask_b32_e32 v17, v17, v22, vcc
	v_cndmask_b32_e64 v21, v21, v23, s[0:1]
	v_mul_f64 v[22:23], v[16:17], v[20:21]
	v_mul_f64 v[16:17], v[16:17], v[18:19]
	v_fma_f64 v[18:19], v[14:15], v[18:19], -v[22:23]
	v_fma_f64 v[14:15], v[14:15], v[20:21], v[16:17]
	v_add_f64 v[6:7], v[6:7], v[18:19]
	v_add_f64 v[2:3], v[2:3], v[14:15]
	s_cbranch_scc0 .LBB53_3
	s_branch .LBB53_5
.LBB53_4:
	v_mov_b32_e32 v2, 0
	v_mov_b32_e32 v6, 0
	;; [unrolled: 1-line block ×4, first 2 shown]
.LBB53_5:
	s_waitcnt lgkmcnt(0)
	s_mul_i32 s0, s11, s8
	s_mul_hi_u32 s1, s10, s8
	v_mul_lo_u32 v8, v5, s12
	v_mul_lo_u32 v9, v4, s13
	v_mad_u64_u32 v[4:5], s[2:3], v4, s12, 0
	s_add_i32 s1, s1, s0
	s_mul_i32 s0, s10, s8
	s_lshl_b64 s[0:1], s[0:1], 4
	v_mul_lo_u32 v10, v1, s14
	v_mul_lo_u32 v11, v0, s15
	v_mad_u64_u32 v[0:1], s[2:3], v0, s14, 0
	s_add_u32 s4, s24, s0
	s_addc_u32 s5, s25, s1
	s_lshl_b64 s[0:1], s[26:27], 4
	v_add3_u32 v5, v5, v9, v8
	s_add_u32 s0, s4, s0
	v_lshlrev_b64 v[4:5], 4, v[4:5]
	s_addc_u32 s1, s5, s1
	v_add3_u32 v1, v1, v11, v10
	v_mov_b32_e32 v8, s1
	v_add_co_u32_e32 v4, vcc, s0, v4
	v_lshlrev_b64 v[0:1], 4, v[0:1]
	v_addc_co_u32_e32 v5, vcc, v8, v5, vcc
	v_add_co_u32_e32 v4, vcc, v4, v0
	v_addc_co_u32_e32 v5, vcc, v5, v1, vcc
	global_load_dwordx4 v[8:11], v[4:5], off
	v_mul_f64 v[0:1], s[6:7], v[2:3]
	v_mul_f64 v[2:3], s[18:19], v[2:3]
	v_fma_f64 v[0:1], s[18:19], v[6:7], -v[0:1]
	v_fma_f64 v[2:3], s[6:7], v[6:7], v[2:3]
	s_waitcnt vmcnt(0)
	v_mul_f64 v[12:13], s[22:23], v[10:11]
	v_mul_f64 v[10:11], s[20:21], v[10:11]
	v_fma_f64 v[6:7], s[20:21], v[8:9], -v[12:13]
	v_fma_f64 v[8:9], s[22:23], v[8:9], v[10:11]
	v_add_f64 v[0:1], v[0:1], v[6:7]
	v_add_f64 v[2:3], v[2:3], v[8:9]
	global_store_dwordx4 v[4:5], v[0:3], off
.LBB53_6:
	s_endpgm
	.section	.rodata,"a",@progbits
	.p2align	6, 0x0
	.amdhsa_kernel _ZN9rocsolver6v33100L11gemm_kernelI19rocblas_complex_numIdElS3_PKPS3_S6_S4_EEvT0_S7_S7_T1_bT2_lS7_S7_lbT3_lS7_S7_lS8_T4_lS7_S7_l
		.amdhsa_group_segment_fixed_size 0
		.amdhsa_private_segment_fixed_size 0
		.amdhsa_kernarg_size 448
		.amdhsa_user_sgpr_count 6
		.amdhsa_user_sgpr_private_segment_buffer 1
		.amdhsa_user_sgpr_dispatch_ptr 0
		.amdhsa_user_sgpr_queue_ptr 0
		.amdhsa_user_sgpr_kernarg_segment_ptr 1
		.amdhsa_user_sgpr_dispatch_id 0
		.amdhsa_user_sgpr_flat_scratch_init 0
		.amdhsa_user_sgpr_private_segment_size 0
		.amdhsa_uses_dynamic_stack 0
		.amdhsa_system_sgpr_private_segment_wavefront_offset 0
		.amdhsa_system_sgpr_workgroup_id_x 1
		.amdhsa_system_sgpr_workgroup_id_y 1
		.amdhsa_system_sgpr_workgroup_id_z 1
		.amdhsa_system_sgpr_workgroup_info 0
		.amdhsa_system_vgpr_workitem_id 1
		.amdhsa_next_free_vgpr 24
		.amdhsa_next_free_sgpr 52
		.amdhsa_reserve_vcc 1
		.amdhsa_reserve_flat_scratch 0
		.amdhsa_float_round_mode_32 0
		.amdhsa_float_round_mode_16_64 0
		.amdhsa_float_denorm_mode_32 3
		.amdhsa_float_denorm_mode_16_64 3
		.amdhsa_dx10_clamp 1
		.amdhsa_ieee_mode 1
		.amdhsa_fp16_overflow 0
		.amdhsa_exception_fp_ieee_invalid_op 0
		.amdhsa_exception_fp_denorm_src 0
		.amdhsa_exception_fp_ieee_div_zero 0
		.amdhsa_exception_fp_ieee_overflow 0
		.amdhsa_exception_fp_ieee_underflow 0
		.amdhsa_exception_fp_ieee_inexact 0
		.amdhsa_exception_int_div_zero 0
	.end_amdhsa_kernel
	.section	.text._ZN9rocsolver6v33100L11gemm_kernelI19rocblas_complex_numIdElS3_PKPS3_S6_S4_EEvT0_S7_S7_T1_bT2_lS7_S7_lbT3_lS7_S7_lS8_T4_lS7_S7_l,"axG",@progbits,_ZN9rocsolver6v33100L11gemm_kernelI19rocblas_complex_numIdElS3_PKPS3_S6_S4_EEvT0_S7_S7_T1_bT2_lS7_S7_lbT3_lS7_S7_lS8_T4_lS7_S7_l,comdat
.Lfunc_end53:
	.size	_ZN9rocsolver6v33100L11gemm_kernelI19rocblas_complex_numIdElS3_PKPS3_S6_S4_EEvT0_S7_S7_T1_bT2_lS7_S7_lbT3_lS7_S7_lS8_T4_lS7_S7_l, .Lfunc_end53-_ZN9rocsolver6v33100L11gemm_kernelI19rocblas_complex_numIdElS3_PKPS3_S6_S4_EEvT0_S7_S7_T1_bT2_lS7_S7_lbT3_lS7_S7_lS8_T4_lS7_S7_l
                                        ; -- End function
	.set _ZN9rocsolver6v33100L11gemm_kernelI19rocblas_complex_numIdElS3_PKPS3_S6_S4_EEvT0_S7_S7_T1_bT2_lS7_S7_lbT3_lS7_S7_lS8_T4_lS7_S7_l.num_vgpr, 24
	.set _ZN9rocsolver6v33100L11gemm_kernelI19rocblas_complex_numIdElS3_PKPS3_S6_S4_EEvT0_S7_S7_T1_bT2_lS7_S7_lbT3_lS7_S7_lS8_T4_lS7_S7_l.num_agpr, 0
	.set _ZN9rocsolver6v33100L11gemm_kernelI19rocblas_complex_numIdElS3_PKPS3_S6_S4_EEvT0_S7_S7_T1_bT2_lS7_S7_lbT3_lS7_S7_lS8_T4_lS7_S7_l.numbered_sgpr, 52
	.set _ZN9rocsolver6v33100L11gemm_kernelI19rocblas_complex_numIdElS3_PKPS3_S6_S4_EEvT0_S7_S7_T1_bT2_lS7_S7_lbT3_lS7_S7_lS8_T4_lS7_S7_l.num_named_barrier, 0
	.set _ZN9rocsolver6v33100L11gemm_kernelI19rocblas_complex_numIdElS3_PKPS3_S6_S4_EEvT0_S7_S7_T1_bT2_lS7_S7_lbT3_lS7_S7_lS8_T4_lS7_S7_l.private_seg_size, 0
	.set _ZN9rocsolver6v33100L11gemm_kernelI19rocblas_complex_numIdElS3_PKPS3_S6_S4_EEvT0_S7_S7_T1_bT2_lS7_S7_lbT3_lS7_S7_lS8_T4_lS7_S7_l.uses_vcc, 1
	.set _ZN9rocsolver6v33100L11gemm_kernelI19rocblas_complex_numIdElS3_PKPS3_S6_S4_EEvT0_S7_S7_T1_bT2_lS7_S7_lbT3_lS7_S7_lS8_T4_lS7_S7_l.uses_flat_scratch, 0
	.set _ZN9rocsolver6v33100L11gemm_kernelI19rocblas_complex_numIdElS3_PKPS3_S6_S4_EEvT0_S7_S7_T1_bT2_lS7_S7_lbT3_lS7_S7_lS8_T4_lS7_S7_l.has_dyn_sized_stack, 0
	.set _ZN9rocsolver6v33100L11gemm_kernelI19rocblas_complex_numIdElS3_PKPS3_S6_S4_EEvT0_S7_S7_T1_bT2_lS7_S7_lbT3_lS7_S7_lS8_T4_lS7_S7_l.has_recursion, 0
	.set _ZN9rocsolver6v33100L11gemm_kernelI19rocblas_complex_numIdElS3_PKPS3_S6_S4_EEvT0_S7_S7_T1_bT2_lS7_S7_lbT3_lS7_S7_lS8_T4_lS7_S7_l.has_indirect_call, 0
	.section	.AMDGPU.csdata,"",@progbits
; Kernel info:
; codeLenInByte = 824
; TotalNumSgprs: 56
; NumVgprs: 24
; ScratchSize: 0
; MemoryBound: 0
; FloatMode: 240
; IeeeMode: 1
; LDSByteSize: 0 bytes/workgroup (compile time only)
; SGPRBlocks: 6
; VGPRBlocks: 5
; NumSGPRsForWavesPerEU: 56
; NumVGPRsForWavesPerEU: 24
; Occupancy: 10
; WaveLimiterHint : 0
; COMPUTE_PGM_RSRC2:SCRATCH_EN: 0
; COMPUTE_PGM_RSRC2:USER_SGPR: 6
; COMPUTE_PGM_RSRC2:TRAP_HANDLER: 0
; COMPUTE_PGM_RSRC2:TGID_X_EN: 1
; COMPUTE_PGM_RSRC2:TGID_Y_EN: 1
; COMPUTE_PGM_RSRC2:TGID_Z_EN: 1
; COMPUTE_PGM_RSRC2:TIDIG_COMP_CNT: 1
	.section	.text._ZN9rocsolver6v33100L16mfma_gemm_kernelI19rocblas_complex_numIdElPKS3_PKPS3_S6_S6_EEv18rocblas_operation_S9_T0_SA_SA_T1_T2_lSA_SA_lT3_lSA_SA_lSB_T4_lSA_SA_l,"axG",@progbits,_ZN9rocsolver6v33100L16mfma_gemm_kernelI19rocblas_complex_numIdElPKS3_PKPS3_S6_S6_EEv18rocblas_operation_S9_T0_SA_SA_T1_T2_lSA_SA_lT3_lSA_SA_lSB_T4_lSA_SA_l,comdat
	.globl	_ZN9rocsolver6v33100L16mfma_gemm_kernelI19rocblas_complex_numIdElPKS3_PKPS3_S6_S6_EEv18rocblas_operation_S9_T0_SA_SA_T1_T2_lSA_SA_lT3_lSA_SA_lSB_T4_lSA_SA_l ; -- Begin function _ZN9rocsolver6v33100L16mfma_gemm_kernelI19rocblas_complex_numIdElPKS3_PKPS3_S6_S6_EEv18rocblas_operation_S9_T0_SA_SA_T1_T2_lSA_SA_lT3_lSA_SA_lSB_T4_lSA_SA_l
	.p2align	8
	.type	_ZN9rocsolver6v33100L16mfma_gemm_kernelI19rocblas_complex_numIdElPKS3_PKPS3_S6_S6_EEv18rocblas_operation_S9_T0_SA_SA_T1_T2_lSA_SA_lT3_lSA_SA_lSB_T4_lSA_SA_l,@function
_ZN9rocsolver6v33100L16mfma_gemm_kernelI19rocblas_complex_numIdElPKS3_PKPS3_S6_S6_EEv18rocblas_operation_S9_T0_SA_SA_T1_T2_lSA_SA_lT3_lSA_SA_lSB_T4_lSA_SA_l: ; @_ZN9rocsolver6v33100L16mfma_gemm_kernelI19rocblas_complex_numIdElPKS3_PKPS3_S6_S6_EEv18rocblas_operation_S9_T0_SA_SA_T1_T2_lSA_SA_lT3_lSA_SA_lSB_T4_lSA_SA_l
; %bb.0:
	s_endpgm
	.section	.rodata,"a",@progbits
	.p2align	6, 0x0
	.amdhsa_kernel _ZN9rocsolver6v33100L16mfma_gemm_kernelI19rocblas_complex_numIdElPKS3_PKPS3_S6_S6_EEv18rocblas_operation_S9_T0_SA_SA_T1_T2_lSA_SA_lT3_lSA_SA_lSB_T4_lSA_SA_l
		.amdhsa_group_segment_fixed_size 0
		.amdhsa_private_segment_fixed_size 0
		.amdhsa_kernarg_size 168
		.amdhsa_user_sgpr_count 6
		.amdhsa_user_sgpr_private_segment_buffer 1
		.amdhsa_user_sgpr_dispatch_ptr 0
		.amdhsa_user_sgpr_queue_ptr 0
		.amdhsa_user_sgpr_kernarg_segment_ptr 1
		.amdhsa_user_sgpr_dispatch_id 0
		.amdhsa_user_sgpr_flat_scratch_init 0
		.amdhsa_user_sgpr_private_segment_size 0
		.amdhsa_uses_dynamic_stack 0
		.amdhsa_system_sgpr_private_segment_wavefront_offset 0
		.amdhsa_system_sgpr_workgroup_id_x 1
		.amdhsa_system_sgpr_workgroup_id_y 0
		.amdhsa_system_sgpr_workgroup_id_z 0
		.amdhsa_system_sgpr_workgroup_info 0
		.amdhsa_system_vgpr_workitem_id 0
		.amdhsa_next_free_vgpr 1
		.amdhsa_next_free_sgpr 0
		.amdhsa_reserve_vcc 0
		.amdhsa_reserve_flat_scratch 0
		.amdhsa_float_round_mode_32 0
		.amdhsa_float_round_mode_16_64 0
		.amdhsa_float_denorm_mode_32 3
		.amdhsa_float_denorm_mode_16_64 3
		.amdhsa_dx10_clamp 1
		.amdhsa_ieee_mode 1
		.amdhsa_fp16_overflow 0
		.amdhsa_exception_fp_ieee_invalid_op 0
		.amdhsa_exception_fp_denorm_src 0
		.amdhsa_exception_fp_ieee_div_zero 0
		.amdhsa_exception_fp_ieee_overflow 0
		.amdhsa_exception_fp_ieee_underflow 0
		.amdhsa_exception_fp_ieee_inexact 0
		.amdhsa_exception_int_div_zero 0
	.end_amdhsa_kernel
	.section	.text._ZN9rocsolver6v33100L16mfma_gemm_kernelI19rocblas_complex_numIdElPKS3_PKPS3_S6_S6_EEv18rocblas_operation_S9_T0_SA_SA_T1_T2_lSA_SA_lT3_lSA_SA_lSB_T4_lSA_SA_l,"axG",@progbits,_ZN9rocsolver6v33100L16mfma_gemm_kernelI19rocblas_complex_numIdElPKS3_PKPS3_S6_S6_EEv18rocblas_operation_S9_T0_SA_SA_T1_T2_lSA_SA_lT3_lSA_SA_lSB_T4_lSA_SA_l,comdat
.Lfunc_end54:
	.size	_ZN9rocsolver6v33100L16mfma_gemm_kernelI19rocblas_complex_numIdElPKS3_PKPS3_S6_S6_EEv18rocblas_operation_S9_T0_SA_SA_T1_T2_lSA_SA_lT3_lSA_SA_lSB_T4_lSA_SA_l, .Lfunc_end54-_ZN9rocsolver6v33100L16mfma_gemm_kernelI19rocblas_complex_numIdElPKS3_PKPS3_S6_S6_EEv18rocblas_operation_S9_T0_SA_SA_T1_T2_lSA_SA_lT3_lSA_SA_lSB_T4_lSA_SA_l
                                        ; -- End function
	.set _ZN9rocsolver6v33100L16mfma_gemm_kernelI19rocblas_complex_numIdElPKS3_PKPS3_S6_S6_EEv18rocblas_operation_S9_T0_SA_SA_T1_T2_lSA_SA_lT3_lSA_SA_lSB_T4_lSA_SA_l.num_vgpr, 0
	.set _ZN9rocsolver6v33100L16mfma_gemm_kernelI19rocblas_complex_numIdElPKS3_PKPS3_S6_S6_EEv18rocblas_operation_S9_T0_SA_SA_T1_T2_lSA_SA_lT3_lSA_SA_lSB_T4_lSA_SA_l.num_agpr, 0
	.set _ZN9rocsolver6v33100L16mfma_gemm_kernelI19rocblas_complex_numIdElPKS3_PKPS3_S6_S6_EEv18rocblas_operation_S9_T0_SA_SA_T1_T2_lSA_SA_lT3_lSA_SA_lSB_T4_lSA_SA_l.numbered_sgpr, 0
	.set _ZN9rocsolver6v33100L16mfma_gemm_kernelI19rocblas_complex_numIdElPKS3_PKPS3_S6_S6_EEv18rocblas_operation_S9_T0_SA_SA_T1_T2_lSA_SA_lT3_lSA_SA_lSB_T4_lSA_SA_l.num_named_barrier, 0
	.set _ZN9rocsolver6v33100L16mfma_gemm_kernelI19rocblas_complex_numIdElPKS3_PKPS3_S6_S6_EEv18rocblas_operation_S9_T0_SA_SA_T1_T2_lSA_SA_lT3_lSA_SA_lSB_T4_lSA_SA_l.private_seg_size, 0
	.set _ZN9rocsolver6v33100L16mfma_gemm_kernelI19rocblas_complex_numIdElPKS3_PKPS3_S6_S6_EEv18rocblas_operation_S9_T0_SA_SA_T1_T2_lSA_SA_lT3_lSA_SA_lSB_T4_lSA_SA_l.uses_vcc, 0
	.set _ZN9rocsolver6v33100L16mfma_gemm_kernelI19rocblas_complex_numIdElPKS3_PKPS3_S6_S6_EEv18rocblas_operation_S9_T0_SA_SA_T1_T2_lSA_SA_lT3_lSA_SA_lSB_T4_lSA_SA_l.uses_flat_scratch, 0
	.set _ZN9rocsolver6v33100L16mfma_gemm_kernelI19rocblas_complex_numIdElPKS3_PKPS3_S6_S6_EEv18rocblas_operation_S9_T0_SA_SA_T1_T2_lSA_SA_lT3_lSA_SA_lSB_T4_lSA_SA_l.has_dyn_sized_stack, 0
	.set _ZN9rocsolver6v33100L16mfma_gemm_kernelI19rocblas_complex_numIdElPKS3_PKPS3_S6_S6_EEv18rocblas_operation_S9_T0_SA_SA_T1_T2_lSA_SA_lT3_lSA_SA_lSB_T4_lSA_SA_l.has_recursion, 0
	.set _ZN9rocsolver6v33100L16mfma_gemm_kernelI19rocblas_complex_numIdElPKS3_PKPS3_S6_S6_EEv18rocblas_operation_S9_T0_SA_SA_T1_T2_lSA_SA_lT3_lSA_SA_lSB_T4_lSA_SA_l.has_indirect_call, 0
	.section	.AMDGPU.csdata,"",@progbits
; Kernel info:
; codeLenInByte = 4
; TotalNumSgprs: 4
; NumVgprs: 0
; ScratchSize: 0
; MemoryBound: 0
; FloatMode: 240
; IeeeMode: 1
; LDSByteSize: 0 bytes/workgroup (compile time only)
; SGPRBlocks: 0
; VGPRBlocks: 0
; NumSGPRsForWavesPerEU: 4
; NumVGPRsForWavesPerEU: 1
; Occupancy: 10
; WaveLimiterHint : 0
; COMPUTE_PGM_RSRC2:SCRATCH_EN: 0
; COMPUTE_PGM_RSRC2:USER_SGPR: 6
; COMPUTE_PGM_RSRC2:TRAP_HANDLER: 0
; COMPUTE_PGM_RSRC2:TGID_X_EN: 1
; COMPUTE_PGM_RSRC2:TGID_Y_EN: 0
; COMPUTE_PGM_RSRC2:TGID_Z_EN: 0
; COMPUTE_PGM_RSRC2:TIDIG_COMP_CNT: 0
	.section	.text._ZN9rocsolver6v33100L16mfma_gemm_kernelI19rocblas_complex_numIdElS3_PKPS3_S4_S4_EEv18rocblas_operation_S7_T0_S8_S8_T1_T2_lS8_S8_lT3_lS8_S8_lS9_T4_lS8_S8_l,"axG",@progbits,_ZN9rocsolver6v33100L16mfma_gemm_kernelI19rocblas_complex_numIdElS3_PKPS3_S4_S4_EEv18rocblas_operation_S7_T0_S8_S8_T1_T2_lS8_S8_lT3_lS8_S8_lS9_T4_lS8_S8_l,comdat
	.globl	_ZN9rocsolver6v33100L16mfma_gemm_kernelI19rocblas_complex_numIdElS3_PKPS3_S4_S4_EEv18rocblas_operation_S7_T0_S8_S8_T1_T2_lS8_S8_lT3_lS8_S8_lS9_T4_lS8_S8_l ; -- Begin function _ZN9rocsolver6v33100L16mfma_gemm_kernelI19rocblas_complex_numIdElS3_PKPS3_S4_S4_EEv18rocblas_operation_S7_T0_S8_S8_T1_T2_lS8_S8_lT3_lS8_S8_lS9_T4_lS8_S8_l
	.p2align	8
	.type	_ZN9rocsolver6v33100L16mfma_gemm_kernelI19rocblas_complex_numIdElS3_PKPS3_S4_S4_EEv18rocblas_operation_S7_T0_S8_S8_T1_T2_lS8_S8_lT3_lS8_S8_lS9_T4_lS8_S8_l,@function
_ZN9rocsolver6v33100L16mfma_gemm_kernelI19rocblas_complex_numIdElS3_PKPS3_S4_S4_EEv18rocblas_operation_S7_T0_S8_S8_T1_T2_lS8_S8_lT3_lS8_S8_lS9_T4_lS8_S8_l: ; @_ZN9rocsolver6v33100L16mfma_gemm_kernelI19rocblas_complex_numIdElS3_PKPS3_S4_S4_EEv18rocblas_operation_S7_T0_S8_S8_T1_T2_lS8_S8_lT3_lS8_S8_lS9_T4_lS8_S8_l
; %bb.0:
	s_endpgm
	.section	.rodata,"a",@progbits
	.p2align	6, 0x0
	.amdhsa_kernel _ZN9rocsolver6v33100L16mfma_gemm_kernelI19rocblas_complex_numIdElS3_PKPS3_S4_S4_EEv18rocblas_operation_S7_T0_S8_S8_T1_T2_lS8_S8_lT3_lS8_S8_lS9_T4_lS8_S8_l
		.amdhsa_group_segment_fixed_size 0
		.amdhsa_private_segment_fixed_size 0
		.amdhsa_kernarg_size 184
		.amdhsa_user_sgpr_count 6
		.amdhsa_user_sgpr_private_segment_buffer 1
		.amdhsa_user_sgpr_dispatch_ptr 0
		.amdhsa_user_sgpr_queue_ptr 0
		.amdhsa_user_sgpr_kernarg_segment_ptr 1
		.amdhsa_user_sgpr_dispatch_id 0
		.amdhsa_user_sgpr_flat_scratch_init 0
		.amdhsa_user_sgpr_private_segment_size 0
		.amdhsa_uses_dynamic_stack 0
		.amdhsa_system_sgpr_private_segment_wavefront_offset 0
		.amdhsa_system_sgpr_workgroup_id_x 1
		.amdhsa_system_sgpr_workgroup_id_y 0
		.amdhsa_system_sgpr_workgroup_id_z 0
		.amdhsa_system_sgpr_workgroup_info 0
		.amdhsa_system_vgpr_workitem_id 0
		.amdhsa_next_free_vgpr 1
		.amdhsa_next_free_sgpr 0
		.amdhsa_reserve_vcc 0
		.amdhsa_reserve_flat_scratch 0
		.amdhsa_float_round_mode_32 0
		.amdhsa_float_round_mode_16_64 0
		.amdhsa_float_denorm_mode_32 3
		.amdhsa_float_denorm_mode_16_64 3
		.amdhsa_dx10_clamp 1
		.amdhsa_ieee_mode 1
		.amdhsa_fp16_overflow 0
		.amdhsa_exception_fp_ieee_invalid_op 0
		.amdhsa_exception_fp_denorm_src 0
		.amdhsa_exception_fp_ieee_div_zero 0
		.amdhsa_exception_fp_ieee_overflow 0
		.amdhsa_exception_fp_ieee_underflow 0
		.amdhsa_exception_fp_ieee_inexact 0
		.amdhsa_exception_int_div_zero 0
	.end_amdhsa_kernel
	.section	.text._ZN9rocsolver6v33100L16mfma_gemm_kernelI19rocblas_complex_numIdElS3_PKPS3_S4_S4_EEv18rocblas_operation_S7_T0_S8_S8_T1_T2_lS8_S8_lT3_lS8_S8_lS9_T4_lS8_S8_l,"axG",@progbits,_ZN9rocsolver6v33100L16mfma_gemm_kernelI19rocblas_complex_numIdElS3_PKPS3_S4_S4_EEv18rocblas_operation_S7_T0_S8_S8_T1_T2_lS8_S8_lT3_lS8_S8_lS9_T4_lS8_S8_l,comdat
.Lfunc_end55:
	.size	_ZN9rocsolver6v33100L16mfma_gemm_kernelI19rocblas_complex_numIdElS3_PKPS3_S4_S4_EEv18rocblas_operation_S7_T0_S8_S8_T1_T2_lS8_S8_lT3_lS8_S8_lS9_T4_lS8_S8_l, .Lfunc_end55-_ZN9rocsolver6v33100L16mfma_gemm_kernelI19rocblas_complex_numIdElS3_PKPS3_S4_S4_EEv18rocblas_operation_S7_T0_S8_S8_T1_T2_lS8_S8_lT3_lS8_S8_lS9_T4_lS8_S8_l
                                        ; -- End function
	.set _ZN9rocsolver6v33100L16mfma_gemm_kernelI19rocblas_complex_numIdElS3_PKPS3_S4_S4_EEv18rocblas_operation_S7_T0_S8_S8_T1_T2_lS8_S8_lT3_lS8_S8_lS9_T4_lS8_S8_l.num_vgpr, 0
	.set _ZN9rocsolver6v33100L16mfma_gemm_kernelI19rocblas_complex_numIdElS3_PKPS3_S4_S4_EEv18rocblas_operation_S7_T0_S8_S8_T1_T2_lS8_S8_lT3_lS8_S8_lS9_T4_lS8_S8_l.num_agpr, 0
	.set _ZN9rocsolver6v33100L16mfma_gemm_kernelI19rocblas_complex_numIdElS3_PKPS3_S4_S4_EEv18rocblas_operation_S7_T0_S8_S8_T1_T2_lS8_S8_lT3_lS8_S8_lS9_T4_lS8_S8_l.numbered_sgpr, 0
	.set _ZN9rocsolver6v33100L16mfma_gemm_kernelI19rocblas_complex_numIdElS3_PKPS3_S4_S4_EEv18rocblas_operation_S7_T0_S8_S8_T1_T2_lS8_S8_lT3_lS8_S8_lS9_T4_lS8_S8_l.num_named_barrier, 0
	.set _ZN9rocsolver6v33100L16mfma_gemm_kernelI19rocblas_complex_numIdElS3_PKPS3_S4_S4_EEv18rocblas_operation_S7_T0_S8_S8_T1_T2_lS8_S8_lT3_lS8_S8_lS9_T4_lS8_S8_l.private_seg_size, 0
	.set _ZN9rocsolver6v33100L16mfma_gemm_kernelI19rocblas_complex_numIdElS3_PKPS3_S4_S4_EEv18rocblas_operation_S7_T0_S8_S8_T1_T2_lS8_S8_lT3_lS8_S8_lS9_T4_lS8_S8_l.uses_vcc, 0
	.set _ZN9rocsolver6v33100L16mfma_gemm_kernelI19rocblas_complex_numIdElS3_PKPS3_S4_S4_EEv18rocblas_operation_S7_T0_S8_S8_T1_T2_lS8_S8_lT3_lS8_S8_lS9_T4_lS8_S8_l.uses_flat_scratch, 0
	.set _ZN9rocsolver6v33100L16mfma_gemm_kernelI19rocblas_complex_numIdElS3_PKPS3_S4_S4_EEv18rocblas_operation_S7_T0_S8_S8_T1_T2_lS8_S8_lT3_lS8_S8_lS9_T4_lS8_S8_l.has_dyn_sized_stack, 0
	.set _ZN9rocsolver6v33100L16mfma_gemm_kernelI19rocblas_complex_numIdElS3_PKPS3_S4_S4_EEv18rocblas_operation_S7_T0_S8_S8_T1_T2_lS8_S8_lT3_lS8_S8_lS9_T4_lS8_S8_l.has_recursion, 0
	.set _ZN9rocsolver6v33100L16mfma_gemm_kernelI19rocblas_complex_numIdElS3_PKPS3_S4_S4_EEv18rocblas_operation_S7_T0_S8_S8_T1_T2_lS8_S8_lT3_lS8_S8_lS9_T4_lS8_S8_l.has_indirect_call, 0
	.section	.AMDGPU.csdata,"",@progbits
; Kernel info:
; codeLenInByte = 4
; TotalNumSgprs: 4
; NumVgprs: 0
; ScratchSize: 0
; MemoryBound: 0
; FloatMode: 240
; IeeeMode: 1
; LDSByteSize: 0 bytes/workgroup (compile time only)
; SGPRBlocks: 0
; VGPRBlocks: 0
; NumSGPRsForWavesPerEU: 4
; NumVGPRsForWavesPerEU: 1
; Occupancy: 10
; WaveLimiterHint : 0
; COMPUTE_PGM_RSRC2:SCRATCH_EN: 0
; COMPUTE_PGM_RSRC2:USER_SGPR: 6
; COMPUTE_PGM_RSRC2:TRAP_HANDLER: 0
; COMPUTE_PGM_RSRC2:TGID_X_EN: 1
; COMPUTE_PGM_RSRC2:TGID_Y_EN: 0
; COMPUTE_PGM_RSRC2:TGID_Z_EN: 0
; COMPUTE_PGM_RSRC2:TIDIG_COMP_CNT: 0
	.section	.text._ZN9rocsolver6v33100L11gemm_kernelI19rocblas_complex_numIdElPKS3_PKPS3_S6_S6_EEvT0_S9_S9_T1_bT2_lS9_S9_lbT3_lS9_S9_lSA_T4_lS9_S9_l,"axG",@progbits,_ZN9rocsolver6v33100L11gemm_kernelI19rocblas_complex_numIdElPKS3_PKPS3_S6_S6_EEvT0_S9_S9_T1_bT2_lS9_S9_lbT3_lS9_S9_lSA_T4_lS9_S9_l,comdat
	.globl	_ZN9rocsolver6v33100L11gemm_kernelI19rocblas_complex_numIdElPKS3_PKPS3_S6_S6_EEvT0_S9_S9_T1_bT2_lS9_S9_lbT3_lS9_S9_lSA_T4_lS9_S9_l ; -- Begin function _ZN9rocsolver6v33100L11gemm_kernelI19rocblas_complex_numIdElPKS3_PKPS3_S6_S6_EEvT0_S9_S9_T1_bT2_lS9_S9_lbT3_lS9_S9_lSA_T4_lS9_S9_l
	.p2align	8
	.type	_ZN9rocsolver6v33100L11gemm_kernelI19rocblas_complex_numIdElPKS3_PKPS3_S6_S6_EEvT0_S9_S9_T1_bT2_lS9_S9_lbT3_lS9_S9_lSA_T4_lS9_S9_l,@function
_ZN9rocsolver6v33100L11gemm_kernelI19rocblas_complex_numIdElPKS3_PKPS3_S6_S6_EEvT0_S9_S9_T1_bT2_lS9_S9_lbT3_lS9_S9_lSA_T4_lS9_S9_l: ; @_ZN9rocsolver6v33100L11gemm_kernelI19rocblas_complex_numIdElPKS3_PKPS3_S6_S6_EEvT0_S9_S9_T1_bT2_lS9_S9_lbT3_lS9_S9_lSA_T4_lS9_S9_l
; %bb.0:
	s_load_dword s0, s[4:5], 0xbc
	s_load_dwordx8 s[24:31], s[4:5], 0x0
	v_mov_b32_e32 v2, v0
	v_mov_b32_e32 v3, 0
	;; [unrolled: 1-line block ×3, first 2 shown]
	s_waitcnt lgkmcnt(0)
	s_lshr_b32 s2, s0, 16
	s_and_b32 s0, s0, 0xffff
	v_mad_u64_u32 v[4:5], s[0:1], s0, v0, v[2:3]
	v_mov_b32_e32 v2, v3
	v_mov_b32_e32 v0, s7
	v_mad_u64_u32 v[0:1], s[0:1], s2, v0, v[1:2]
	v_cmp_gt_i64_e32 vcc, s[24:25], v[4:5]
	v_cmp_gt_i64_e64 s[0:1], s[26:27], v[0:1]
	s_and_b64 s[0:1], vcc, s[0:1]
	s_and_saveexec_b64 s[2:3], s[0:1]
	s_cbranch_execz .LBB56_6
; %bb.1:
	s_load_dwordx16 s[12:27], s[4:5], 0x58
	v_cmp_lt_i64_e64 s[0:1], s[28:29], 1
	s_mov_b32 s9, 0
	s_and_b64 vcc, exec, s[0:1]
	s_cbranch_vccnz .LBB56_4
; %bb.2:
	s_load_dwordx8 s[36:43], s[4:5], 0x28
	s_load_dword s6, s[4:5], 0x20
	s_load_dword s7, s[4:5], 0x50
	s_lshl_b64 s[0:1], s[8:9], 3
	s_waitcnt lgkmcnt(0)
	v_mul_lo_u32 v10, s19, v0
	s_add_u32 s0, s36, s0
	s_addc_u32 s1, s37, s1
	s_load_dwordx2 s[2:3], s[0:1], 0x0
	s_bitcmp1_b32 s6, 0
	s_cselect_b64 vcc, -1, 0
	s_bitcmp1_b32 s7, 0
	v_mul_lo_u32 v6, v5, s40
	v_mul_lo_u32 v7, v4, s41
	v_mad_u64_u32 v[2:3], s[6:7], v4, s40, 0
	s_cselect_b64 s[0:1], -1, 0
	s_lshl_b64 s[6:7], s[38:39], 4
	s_waitcnt lgkmcnt(0)
	s_add_u32 s6, s2, s6
	v_add3_u32 v3, v3, v7, v6
	s_addc_u32 s2, s3, s7
	v_lshlrev_b64 v[2:3], 4, v[2:3]
	v_mov_b32_e32 v9, s2
	v_mad_u64_u32 v[6:7], s[2:3], s18, v0, 0
	v_add_co_u32_e64 v8, s[2:3], s6, v2
	v_addc_co_u32_e64 v9, s[2:3], v9, v3, s[2:3]
	v_mul_lo_u32 v11, s18, v1
	s_mul_i32 s2, s21, s8
	s_mul_hi_u32 s3, s20, s8
	s_add_i32 s3, s3, s2
	s_mul_i32 s2, s20, s8
	s_lshl_b64 s[10:11], s[42:43], 4
	s_lshl_b64 s[2:3], s[2:3], 4
	;; [unrolled: 1-line block ×3, first 2 shown]
	s_add_u32 s6, s12, s6
	v_add3_u32 v7, v7, v11, v10
	s_addc_u32 s7, s13, s7
	v_lshlrev_b64 v[2:3], 4, v[6:7]
	s_add_u32 s2, s6, s2
	s_addc_u32 s3, s7, s3
	v_mov_b32_e32 v6, s3
	v_add_co_u32_e64 v2, s[2:3], s2, v2
	v_addc_co_u32_e64 v3, s[2:3], v6, v3, s[2:3]
	v_add_co_u32_e64 v10, s[2:3], 8, v2
	v_addc_co_u32_e64 v11, s[2:3], 0, v3, s[2:3]
	s_lshl_b64 s[12:13], s[16:17], 4
	v_mov_b32_e32 v2, 0
	v_mov_b32_e32 v6, 0
	;; [unrolled: 1-line block ×6, first 2 shown]
.LBB56_3:                               ; =>This Inner Loop Header: Depth=1
	flat_load_dwordx4 v[14:17], v[8:9]
	global_load_dwordx4 v[18:21], v[10:11], off offset:-8
	s_add_u32 s28, s28, -1
	v_add_co_u32_e64 v10, s[2:3], s12, v10
	v_add_co_u32_e64 v8, s[6:7], s10, v8
	s_addc_u32 s29, s29, -1
	v_addc_co_u32_e64 v9, s[6:7], v9, v12, s[6:7]
	s_cmp_eq_u64 s[28:29], 0
	v_addc_co_u32_e64 v11, s[2:3], v11, v13, s[2:3]
	s_waitcnt vmcnt(0) lgkmcnt(0)
	v_xor_b32_e32 v22, 0x80000000, v17
	v_xor_b32_e32 v23, 0x80000000, v21
	v_cndmask_b32_e32 v17, v17, v22, vcc
	v_cndmask_b32_e64 v21, v21, v23, s[0:1]
	v_mul_f64 v[22:23], v[16:17], v[20:21]
	v_mul_f64 v[16:17], v[16:17], v[18:19]
	v_fma_f64 v[18:19], v[14:15], v[18:19], -v[22:23]
	v_fma_f64 v[14:15], v[14:15], v[20:21], v[16:17]
	v_add_f64 v[6:7], v[6:7], v[18:19]
	v_add_f64 v[2:3], v[2:3], v[14:15]
	s_cbranch_scc0 .LBB56_3
	s_branch .LBB56_5
.LBB56_4:
	v_mov_b32_e32 v2, 0
	v_mov_b32_e32 v6, 0
	;; [unrolled: 1-line block ×4, first 2 shown]
.LBB56_5:
	s_waitcnt lgkmcnt(0)
	s_load_dwordx4 s[12:15], s[30:31], 0x0
	s_load_dwordx4 s[0:3], s[22:23], 0x0
                                        ; kill: killed $sgpr30_sgpr31
                                        ; kill: killed $sgpr22_sgpr23
	s_load_dwordx2 s[6:7], s[4:5], 0xa8
	s_load_dwordx4 s[16:19], s[4:5], 0x98
	s_waitcnt lgkmcnt(0)
	s_mul_i32 s5, s7, s8
	s_mul_hi_u32 s7, s6, s8
	s_mul_i32 s4, s6, s8
	s_add_i32 s5, s7, s5
	v_mul_lo_u32 v8, v5, s16
	v_mul_lo_u32 v9, v4, s17
	v_mad_u64_u32 v[4:5], s[6:7], v4, s16, 0
	s_lshl_b64 s[4:5], s[4:5], 4
	v_mul_lo_u32 v10, v1, s18
	v_mul_lo_u32 v11, v0, s19
	v_mad_u64_u32 v[0:1], s[6:7], v0, s18, 0
	s_add_u32 s8, s24, s4
	s_addc_u32 s9, s25, s5
	s_lshl_b64 s[4:5], s[26:27], 4
	v_add3_u32 v5, v5, v9, v8
	s_add_u32 s4, s8, s4
	v_lshlrev_b64 v[4:5], 4, v[4:5]
	s_addc_u32 s5, s9, s5
	v_add3_u32 v1, v1, v11, v10
	v_mov_b32_e32 v8, s5
	v_add_co_u32_e32 v4, vcc, s4, v4
	v_lshlrev_b64 v[0:1], 4, v[0:1]
	v_addc_co_u32_e32 v5, vcc, v8, v5, vcc
	v_add_co_u32_e32 v4, vcc, v4, v0
	v_addc_co_u32_e32 v5, vcc, v5, v1, vcc
	global_load_dwordx4 v[8:11], v[4:5], off
	v_mul_f64 v[0:1], s[14:15], v[2:3]
	v_mul_f64 v[2:3], s[12:13], v[2:3]
	v_fma_f64 v[0:1], s[12:13], v[6:7], -v[0:1]
	v_fma_f64 v[2:3], s[14:15], v[6:7], v[2:3]
	s_waitcnt vmcnt(0)
	v_mul_f64 v[12:13], s[2:3], v[10:11]
	v_mul_f64 v[10:11], s[0:1], v[10:11]
	v_fma_f64 v[6:7], s[0:1], v[8:9], -v[12:13]
	v_fma_f64 v[8:9], s[2:3], v[8:9], v[10:11]
	v_add_f64 v[0:1], v[0:1], v[6:7]
	v_add_f64 v[2:3], v[2:3], v[8:9]
	global_store_dwordx4 v[4:5], v[0:3], off
.LBB56_6:
	s_endpgm
	.section	.rodata,"a",@progbits
	.p2align	6, 0x0
	.amdhsa_kernel _ZN9rocsolver6v33100L11gemm_kernelI19rocblas_complex_numIdElPKS3_PKPS3_S6_S6_EEvT0_S9_S9_T1_bT2_lS9_S9_lbT3_lS9_S9_lSA_T4_lS9_S9_l
		.amdhsa_group_segment_fixed_size 0
		.amdhsa_private_segment_fixed_size 0
		.amdhsa_kernarg_size 432
		.amdhsa_user_sgpr_count 6
		.amdhsa_user_sgpr_private_segment_buffer 1
		.amdhsa_user_sgpr_dispatch_ptr 0
		.amdhsa_user_sgpr_queue_ptr 0
		.amdhsa_user_sgpr_kernarg_segment_ptr 1
		.amdhsa_user_sgpr_dispatch_id 0
		.amdhsa_user_sgpr_flat_scratch_init 0
		.amdhsa_user_sgpr_private_segment_size 0
		.amdhsa_uses_dynamic_stack 0
		.amdhsa_system_sgpr_private_segment_wavefront_offset 0
		.amdhsa_system_sgpr_workgroup_id_x 1
		.amdhsa_system_sgpr_workgroup_id_y 1
		.amdhsa_system_sgpr_workgroup_id_z 1
		.amdhsa_system_sgpr_workgroup_info 0
		.amdhsa_system_vgpr_workitem_id 1
		.amdhsa_next_free_vgpr 24
		.amdhsa_next_free_sgpr 44
		.amdhsa_reserve_vcc 1
		.amdhsa_reserve_flat_scratch 0
		.amdhsa_float_round_mode_32 0
		.amdhsa_float_round_mode_16_64 0
		.amdhsa_float_denorm_mode_32 3
		.amdhsa_float_denorm_mode_16_64 3
		.amdhsa_dx10_clamp 1
		.amdhsa_ieee_mode 1
		.amdhsa_fp16_overflow 0
		.amdhsa_exception_fp_ieee_invalid_op 0
		.amdhsa_exception_fp_denorm_src 0
		.amdhsa_exception_fp_ieee_div_zero 0
		.amdhsa_exception_fp_ieee_overflow 0
		.amdhsa_exception_fp_ieee_underflow 0
		.amdhsa_exception_fp_ieee_inexact 0
		.amdhsa_exception_int_div_zero 0
	.end_amdhsa_kernel
	.section	.text._ZN9rocsolver6v33100L11gemm_kernelI19rocblas_complex_numIdElPKS3_PKPS3_S6_S6_EEvT0_S9_S9_T1_bT2_lS9_S9_lbT3_lS9_S9_lSA_T4_lS9_S9_l,"axG",@progbits,_ZN9rocsolver6v33100L11gemm_kernelI19rocblas_complex_numIdElPKS3_PKPS3_S6_S6_EEvT0_S9_S9_T1_bT2_lS9_S9_lbT3_lS9_S9_lSA_T4_lS9_S9_l,comdat
.Lfunc_end56:
	.size	_ZN9rocsolver6v33100L11gemm_kernelI19rocblas_complex_numIdElPKS3_PKPS3_S6_S6_EEvT0_S9_S9_T1_bT2_lS9_S9_lbT3_lS9_S9_lSA_T4_lS9_S9_l, .Lfunc_end56-_ZN9rocsolver6v33100L11gemm_kernelI19rocblas_complex_numIdElPKS3_PKPS3_S6_S6_EEvT0_S9_S9_T1_bT2_lS9_S9_lbT3_lS9_S9_lSA_T4_lS9_S9_l
                                        ; -- End function
	.set _ZN9rocsolver6v33100L11gemm_kernelI19rocblas_complex_numIdElPKS3_PKPS3_S6_S6_EEvT0_S9_S9_T1_bT2_lS9_S9_lbT3_lS9_S9_lSA_T4_lS9_S9_l.num_vgpr, 24
	.set _ZN9rocsolver6v33100L11gemm_kernelI19rocblas_complex_numIdElPKS3_PKPS3_S6_S6_EEvT0_S9_S9_T1_bT2_lS9_S9_lbT3_lS9_S9_lSA_T4_lS9_S9_l.num_agpr, 0
	.set _ZN9rocsolver6v33100L11gemm_kernelI19rocblas_complex_numIdElPKS3_PKPS3_S6_S6_EEvT0_S9_S9_T1_bT2_lS9_S9_lbT3_lS9_S9_lSA_T4_lS9_S9_l.numbered_sgpr, 44
	.set _ZN9rocsolver6v33100L11gemm_kernelI19rocblas_complex_numIdElPKS3_PKPS3_S6_S6_EEvT0_S9_S9_T1_bT2_lS9_S9_lbT3_lS9_S9_lSA_T4_lS9_S9_l.num_named_barrier, 0
	.set _ZN9rocsolver6v33100L11gemm_kernelI19rocblas_complex_numIdElPKS3_PKPS3_S6_S6_EEvT0_S9_S9_T1_bT2_lS9_S9_lbT3_lS9_S9_lSA_T4_lS9_S9_l.private_seg_size, 0
	.set _ZN9rocsolver6v33100L11gemm_kernelI19rocblas_complex_numIdElPKS3_PKPS3_S6_S6_EEvT0_S9_S9_T1_bT2_lS9_S9_lbT3_lS9_S9_lSA_T4_lS9_S9_l.uses_vcc, 1
	.set _ZN9rocsolver6v33100L11gemm_kernelI19rocblas_complex_numIdElPKS3_PKPS3_S6_S6_EEvT0_S9_S9_T1_bT2_lS9_S9_lbT3_lS9_S9_lSA_T4_lS9_S9_l.uses_flat_scratch, 0
	.set _ZN9rocsolver6v33100L11gemm_kernelI19rocblas_complex_numIdElPKS3_PKPS3_S6_S6_EEvT0_S9_S9_T1_bT2_lS9_S9_lbT3_lS9_S9_lSA_T4_lS9_S9_l.has_dyn_sized_stack, 0
	.set _ZN9rocsolver6v33100L11gemm_kernelI19rocblas_complex_numIdElPKS3_PKPS3_S6_S6_EEvT0_S9_S9_T1_bT2_lS9_S9_lbT3_lS9_S9_lSA_T4_lS9_S9_l.has_recursion, 0
	.set _ZN9rocsolver6v33100L11gemm_kernelI19rocblas_complex_numIdElPKS3_PKPS3_S6_S6_EEvT0_S9_S9_T1_bT2_lS9_S9_lbT3_lS9_S9_lSA_T4_lS9_S9_l.has_indirect_call, 0
	.section	.AMDGPU.csdata,"",@progbits
; Kernel info:
; codeLenInByte = 856
; TotalNumSgprs: 48
; NumVgprs: 24
; ScratchSize: 0
; MemoryBound: 0
; FloatMode: 240
; IeeeMode: 1
; LDSByteSize: 0 bytes/workgroup (compile time only)
; SGPRBlocks: 5
; VGPRBlocks: 5
; NumSGPRsForWavesPerEU: 48
; NumVGPRsForWavesPerEU: 24
; Occupancy: 10
; WaveLimiterHint : 0
; COMPUTE_PGM_RSRC2:SCRATCH_EN: 0
; COMPUTE_PGM_RSRC2:USER_SGPR: 6
; COMPUTE_PGM_RSRC2:TRAP_HANDLER: 0
; COMPUTE_PGM_RSRC2:TGID_X_EN: 1
; COMPUTE_PGM_RSRC2:TGID_Y_EN: 1
; COMPUTE_PGM_RSRC2:TGID_Z_EN: 1
; COMPUTE_PGM_RSRC2:TIDIG_COMP_CNT: 1
	.section	.text._ZN9rocsolver6v33100L11gemm_kernelI19rocblas_complex_numIdElS3_PKPS3_S4_S4_EEvT0_S7_S7_T1_bT2_lS7_S7_lbT3_lS7_S7_lS8_T4_lS7_S7_l,"axG",@progbits,_ZN9rocsolver6v33100L11gemm_kernelI19rocblas_complex_numIdElS3_PKPS3_S4_S4_EEvT0_S7_S7_T1_bT2_lS7_S7_lbT3_lS7_S7_lS8_T4_lS7_S7_l,comdat
	.globl	_ZN9rocsolver6v33100L11gemm_kernelI19rocblas_complex_numIdElS3_PKPS3_S4_S4_EEvT0_S7_S7_T1_bT2_lS7_S7_lbT3_lS7_S7_lS8_T4_lS7_S7_l ; -- Begin function _ZN9rocsolver6v33100L11gemm_kernelI19rocblas_complex_numIdElS3_PKPS3_S4_S4_EEvT0_S7_S7_T1_bT2_lS7_S7_lbT3_lS7_S7_lS8_T4_lS7_S7_l
	.p2align	8
	.type	_ZN9rocsolver6v33100L11gemm_kernelI19rocblas_complex_numIdElS3_PKPS3_S4_S4_EEvT0_S7_S7_T1_bT2_lS7_S7_lbT3_lS7_S7_lS8_T4_lS7_S7_l,@function
_ZN9rocsolver6v33100L11gemm_kernelI19rocblas_complex_numIdElS3_PKPS3_S4_S4_EEvT0_S7_S7_T1_bT2_lS7_S7_lbT3_lS7_S7_lS8_T4_lS7_S7_l: ; @_ZN9rocsolver6v33100L11gemm_kernelI19rocblas_complex_numIdElS3_PKPS3_S4_S4_EEvT0_S7_S7_T1_bT2_lS7_S7_lbT3_lS7_S7_lS8_T4_lS7_S7_l
; %bb.0:
	s_load_dword s0, s[4:5], 0xcc
	s_load_dwordx8 s[24:31], s[4:5], 0x0
	v_mov_b32_e32 v2, v0
	v_mov_b32_e32 v3, 0
	;; [unrolled: 1-line block ×3, first 2 shown]
	s_waitcnt lgkmcnt(0)
	s_lshr_b32 s2, s0, 16
	s_and_b32 s0, s0, 0xffff
	v_mad_u64_u32 v[4:5], s[0:1], s0, v0, v[2:3]
	v_mov_b32_e32 v2, v3
	v_mov_b32_e32 v0, s7
	v_mad_u64_u32 v[0:1], s[0:1], s2, v0, v[1:2]
	v_cmp_gt_i64_e32 vcc, s[24:25], v[4:5]
	v_cmp_gt_i64_e64 s[0:1], s[26:27], v[0:1]
	s_and_b64 s[0:1], vcc, s[0:1]
	s_and_saveexec_b64 s[2:3], s[0:1]
	s_cbranch_execz .LBB57_6
; %bb.1:
	s_load_dwordx2 s[10:11], s[4:5], 0x20
	s_load_dwordx16 s[12:27], s[4:5], 0x60
	v_cmp_lt_i64_e64 s[0:1], s[28:29], 1
	s_mov_b32 s9, 0
	s_and_b64 vcc, exec, s[0:1]
	s_cbranch_vccnz .LBB57_4
; %bb.2:
	s_load_dwordx8 s[36:43], s[4:5], 0x30
	s_load_dword s6, s[4:5], 0x28
	s_load_dword s7, s[4:5], 0x58
	s_lshl_b64 s[0:1], s[8:9], 3
	s_waitcnt lgkmcnt(0)
	v_mul_lo_u32 v10, s19, v0
	s_add_u32 s0, s36, s0
	s_addc_u32 s1, s37, s1
	s_load_dwordx2 s[2:3], s[0:1], 0x0
	s_bitcmp1_b32 s6, 0
	s_cselect_b64 vcc, -1, 0
	s_bitcmp1_b32 s7, 0
	v_mul_lo_u32 v6, v5, s40
	v_mul_lo_u32 v7, v4, s41
	v_mad_u64_u32 v[2:3], s[6:7], v4, s40, 0
	s_cselect_b64 s[0:1], -1, 0
	s_lshl_b64 s[6:7], s[38:39], 4
	s_waitcnt lgkmcnt(0)
	s_add_u32 s6, s2, s6
	v_add3_u32 v3, v3, v7, v6
	s_addc_u32 s2, s3, s7
	v_lshlrev_b64 v[2:3], 4, v[2:3]
	v_mov_b32_e32 v9, s2
	v_mad_u64_u32 v[6:7], s[2:3], s18, v0, 0
	v_add_co_u32_e64 v8, s[2:3], s6, v2
	v_addc_co_u32_e64 v9, s[2:3], v9, v3, s[2:3]
	v_mul_lo_u32 v11, s18, v1
	s_mul_i32 s2, s21, s8
	s_mul_hi_u32 s3, s20, s8
	s_add_i32 s3, s3, s2
	s_mul_i32 s2, s20, s8
	s_lshl_b64 s[18:19], s[42:43], 4
	s_lshl_b64 s[2:3], s[2:3], 4
	;; [unrolled: 1-line block ×3, first 2 shown]
	s_add_u32 s6, s12, s6
	v_add3_u32 v7, v7, v11, v10
	s_addc_u32 s7, s13, s7
	v_lshlrev_b64 v[2:3], 4, v[6:7]
	s_add_u32 s2, s6, s2
	s_addc_u32 s3, s7, s3
	v_mov_b32_e32 v6, s3
	v_add_co_u32_e64 v2, s[2:3], s2, v2
	v_addc_co_u32_e64 v3, s[2:3], v6, v3, s[2:3]
	v_add_co_u32_e64 v10, s[2:3], 8, v2
	v_addc_co_u32_e64 v11, s[2:3], 0, v3, s[2:3]
	s_lshl_b64 s[12:13], s[16:17], 4
	v_mov_b32_e32 v2, 0
	v_mov_b32_e32 v6, 0
	;; [unrolled: 1-line block ×6, first 2 shown]
.LBB57_3:                               ; =>This Inner Loop Header: Depth=1
	flat_load_dwordx4 v[14:17], v[8:9]
	global_load_dwordx4 v[18:21], v[10:11], off offset:-8
	s_add_u32 s28, s28, -1
	v_add_co_u32_e64 v10, s[2:3], s12, v10
	v_add_co_u32_e64 v8, s[6:7], s18, v8
	s_addc_u32 s29, s29, -1
	v_addc_co_u32_e64 v9, s[6:7], v9, v12, s[6:7]
	s_cmp_eq_u64 s[28:29], 0
	v_addc_co_u32_e64 v11, s[2:3], v11, v13, s[2:3]
	s_waitcnt vmcnt(0) lgkmcnt(0)
	v_xor_b32_e32 v22, 0x80000000, v17
	v_xor_b32_e32 v23, 0x80000000, v21
	v_cndmask_b32_e32 v17, v17, v22, vcc
	v_cndmask_b32_e64 v21, v21, v23, s[0:1]
	v_mul_f64 v[22:23], v[16:17], v[20:21]
	v_mul_f64 v[16:17], v[16:17], v[18:19]
	v_fma_f64 v[18:19], v[14:15], v[18:19], -v[22:23]
	v_fma_f64 v[14:15], v[14:15], v[20:21], v[16:17]
	v_add_f64 v[6:7], v[6:7], v[18:19]
	v_add_f64 v[2:3], v[2:3], v[14:15]
	s_cbranch_scc0 .LBB57_3
	s_branch .LBB57_5
.LBB57_4:
	v_mov_b32_e32 v2, 0
	v_mov_b32_e32 v6, 0
	v_mov_b32_e32 v3, 0
	v_mov_b32_e32 v7, 0
.LBB57_5:
	s_waitcnt lgkmcnt(0)
	s_load_dwordx8 s[12:19], s[4:5], 0xa0
	s_waitcnt lgkmcnt(0)
	s_mul_i32 s1, s19, s8
	s_mul_hi_u32 s2, s18, s8
	v_mul_lo_u32 v8, v5, s14
	s_add_i32 s1, s2, s1
	v_mul_lo_u32 v9, v4, s15
	v_mad_u64_u32 v[4:5], s[2:3], v4, s14, 0
	s_mul_i32 s0, s18, s8
	s_lshl_b64 s[0:1], s[0:1], 4
	v_mul_lo_u32 v10, v1, s16
	v_mul_lo_u32 v11, v0, s17
	v_mad_u64_u32 v[0:1], s[2:3], v0, s16, 0
	s_add_u32 s4, s26, s0
	s_addc_u32 s5, s27, s1
	s_lshl_b64 s[0:1], s[12:13], 4
	v_add3_u32 v5, v5, v9, v8
	s_add_u32 s0, s4, s0
	v_lshlrev_b64 v[4:5], 4, v[4:5]
	s_addc_u32 s1, s5, s1
	v_add3_u32 v1, v1, v11, v10
	v_mov_b32_e32 v8, s1
	v_add_co_u32_e32 v4, vcc, s0, v4
	v_lshlrev_b64 v[0:1], 4, v[0:1]
	v_addc_co_u32_e32 v5, vcc, v8, v5, vcc
	v_add_co_u32_e32 v4, vcc, v4, v0
	v_addc_co_u32_e32 v5, vcc, v5, v1, vcc
	global_load_dwordx4 v[8:11], v[4:5], off
	v_mul_f64 v[0:1], s[10:11], v[2:3]
	v_mul_f64 v[2:3], s[30:31], v[2:3]
	v_fma_f64 v[0:1], s[30:31], v[6:7], -v[0:1]
	v_fma_f64 v[2:3], s[10:11], v[6:7], v[2:3]
	s_waitcnt vmcnt(0)
	v_mul_f64 v[12:13], s[24:25], v[10:11]
	v_mul_f64 v[10:11], s[22:23], v[10:11]
	v_fma_f64 v[6:7], s[22:23], v[8:9], -v[12:13]
	v_fma_f64 v[8:9], s[24:25], v[8:9], v[10:11]
	v_add_f64 v[0:1], v[0:1], v[6:7]
	v_add_f64 v[2:3], v[2:3], v[8:9]
	global_store_dwordx4 v[4:5], v[0:3], off
.LBB57_6:
	s_endpgm
	.section	.rodata,"a",@progbits
	.p2align	6, 0x0
	.amdhsa_kernel _ZN9rocsolver6v33100L11gemm_kernelI19rocblas_complex_numIdElS3_PKPS3_S4_S4_EEvT0_S7_S7_T1_bT2_lS7_S7_lbT3_lS7_S7_lS8_T4_lS7_S7_l
		.amdhsa_group_segment_fixed_size 0
		.amdhsa_private_segment_fixed_size 0
		.amdhsa_kernarg_size 448
		.amdhsa_user_sgpr_count 6
		.amdhsa_user_sgpr_private_segment_buffer 1
		.amdhsa_user_sgpr_dispatch_ptr 0
		.amdhsa_user_sgpr_queue_ptr 0
		.amdhsa_user_sgpr_kernarg_segment_ptr 1
		.amdhsa_user_sgpr_dispatch_id 0
		.amdhsa_user_sgpr_flat_scratch_init 0
		.amdhsa_user_sgpr_private_segment_size 0
		.amdhsa_uses_dynamic_stack 0
		.amdhsa_system_sgpr_private_segment_wavefront_offset 0
		.amdhsa_system_sgpr_workgroup_id_x 1
		.amdhsa_system_sgpr_workgroup_id_y 1
		.amdhsa_system_sgpr_workgroup_id_z 1
		.amdhsa_system_sgpr_workgroup_info 0
		.amdhsa_system_vgpr_workitem_id 1
		.amdhsa_next_free_vgpr 24
		.amdhsa_next_free_sgpr 44
		.amdhsa_reserve_vcc 1
		.amdhsa_reserve_flat_scratch 0
		.amdhsa_float_round_mode_32 0
		.amdhsa_float_round_mode_16_64 0
		.amdhsa_float_denorm_mode_32 3
		.amdhsa_float_denorm_mode_16_64 3
		.amdhsa_dx10_clamp 1
		.amdhsa_ieee_mode 1
		.amdhsa_fp16_overflow 0
		.amdhsa_exception_fp_ieee_invalid_op 0
		.amdhsa_exception_fp_denorm_src 0
		.amdhsa_exception_fp_ieee_div_zero 0
		.amdhsa_exception_fp_ieee_overflow 0
		.amdhsa_exception_fp_ieee_underflow 0
		.amdhsa_exception_fp_ieee_inexact 0
		.amdhsa_exception_int_div_zero 0
	.end_amdhsa_kernel
	.section	.text._ZN9rocsolver6v33100L11gemm_kernelI19rocblas_complex_numIdElS3_PKPS3_S4_S4_EEvT0_S7_S7_T1_bT2_lS7_S7_lbT3_lS7_S7_lS8_T4_lS7_S7_l,"axG",@progbits,_ZN9rocsolver6v33100L11gemm_kernelI19rocblas_complex_numIdElS3_PKPS3_S4_S4_EEvT0_S7_S7_T1_bT2_lS7_S7_lbT3_lS7_S7_lS8_T4_lS7_S7_l,comdat
.Lfunc_end57:
	.size	_ZN9rocsolver6v33100L11gemm_kernelI19rocblas_complex_numIdElS3_PKPS3_S4_S4_EEvT0_S7_S7_T1_bT2_lS7_S7_lbT3_lS7_S7_lS8_T4_lS7_S7_l, .Lfunc_end57-_ZN9rocsolver6v33100L11gemm_kernelI19rocblas_complex_numIdElS3_PKPS3_S4_S4_EEvT0_S7_S7_T1_bT2_lS7_S7_lbT3_lS7_S7_lS8_T4_lS7_S7_l
                                        ; -- End function
	.set _ZN9rocsolver6v33100L11gemm_kernelI19rocblas_complex_numIdElS3_PKPS3_S4_S4_EEvT0_S7_S7_T1_bT2_lS7_S7_lbT3_lS7_S7_lS8_T4_lS7_S7_l.num_vgpr, 24
	.set _ZN9rocsolver6v33100L11gemm_kernelI19rocblas_complex_numIdElS3_PKPS3_S4_S4_EEvT0_S7_S7_T1_bT2_lS7_S7_lbT3_lS7_S7_lS8_T4_lS7_S7_l.num_agpr, 0
	.set _ZN9rocsolver6v33100L11gemm_kernelI19rocblas_complex_numIdElS3_PKPS3_S4_S4_EEvT0_S7_S7_T1_bT2_lS7_S7_lbT3_lS7_S7_lS8_T4_lS7_S7_l.numbered_sgpr, 44
	.set _ZN9rocsolver6v33100L11gemm_kernelI19rocblas_complex_numIdElS3_PKPS3_S4_S4_EEvT0_S7_S7_T1_bT2_lS7_S7_lbT3_lS7_S7_lS8_T4_lS7_S7_l.num_named_barrier, 0
	.set _ZN9rocsolver6v33100L11gemm_kernelI19rocblas_complex_numIdElS3_PKPS3_S4_S4_EEvT0_S7_S7_T1_bT2_lS7_S7_lbT3_lS7_S7_lS8_T4_lS7_S7_l.private_seg_size, 0
	.set _ZN9rocsolver6v33100L11gemm_kernelI19rocblas_complex_numIdElS3_PKPS3_S4_S4_EEvT0_S7_S7_T1_bT2_lS7_S7_lbT3_lS7_S7_lS8_T4_lS7_S7_l.uses_vcc, 1
	.set _ZN9rocsolver6v33100L11gemm_kernelI19rocblas_complex_numIdElS3_PKPS3_S4_S4_EEvT0_S7_S7_T1_bT2_lS7_S7_lbT3_lS7_S7_lS8_T4_lS7_S7_l.uses_flat_scratch, 0
	.set _ZN9rocsolver6v33100L11gemm_kernelI19rocblas_complex_numIdElS3_PKPS3_S4_S4_EEvT0_S7_S7_T1_bT2_lS7_S7_lbT3_lS7_S7_lS8_T4_lS7_S7_l.has_dyn_sized_stack, 0
	.set _ZN9rocsolver6v33100L11gemm_kernelI19rocblas_complex_numIdElS3_PKPS3_S4_S4_EEvT0_S7_S7_T1_bT2_lS7_S7_lbT3_lS7_S7_lS8_T4_lS7_S7_l.has_recursion, 0
	.set _ZN9rocsolver6v33100L11gemm_kernelI19rocblas_complex_numIdElS3_PKPS3_S4_S4_EEvT0_S7_S7_T1_bT2_lS7_S7_lbT3_lS7_S7_lS8_T4_lS7_S7_l.has_indirect_call, 0
	.section	.AMDGPU.csdata,"",@progbits
; Kernel info:
; codeLenInByte = 840
; TotalNumSgprs: 48
; NumVgprs: 24
; ScratchSize: 0
; MemoryBound: 0
; FloatMode: 240
; IeeeMode: 1
; LDSByteSize: 0 bytes/workgroup (compile time only)
; SGPRBlocks: 5
; VGPRBlocks: 5
; NumSGPRsForWavesPerEU: 48
; NumVGPRsForWavesPerEU: 24
; Occupancy: 10
; WaveLimiterHint : 0
; COMPUTE_PGM_RSRC2:SCRATCH_EN: 0
; COMPUTE_PGM_RSRC2:USER_SGPR: 6
; COMPUTE_PGM_RSRC2:TRAP_HANDLER: 0
; COMPUTE_PGM_RSRC2:TGID_X_EN: 1
; COMPUTE_PGM_RSRC2:TGID_Y_EN: 1
; COMPUTE_PGM_RSRC2:TGID_Z_EN: 1
; COMPUTE_PGM_RSRC2:TIDIG_COMP_CNT: 1
	.section	.text._ZN9rocsolver6v33100L16mfma_gemm_kernelI19rocblas_complex_numIdElPKS3_PS3_PKS6_S6_EEv18rocblas_operation_S9_T0_SA_SA_T1_T2_lSA_SA_lT3_lSA_SA_lSB_T4_lSA_SA_l,"axG",@progbits,_ZN9rocsolver6v33100L16mfma_gemm_kernelI19rocblas_complex_numIdElPKS3_PS3_PKS6_S6_EEv18rocblas_operation_S9_T0_SA_SA_T1_T2_lSA_SA_lT3_lSA_SA_lSB_T4_lSA_SA_l,comdat
	.globl	_ZN9rocsolver6v33100L16mfma_gemm_kernelI19rocblas_complex_numIdElPKS3_PS3_PKS6_S6_EEv18rocblas_operation_S9_T0_SA_SA_T1_T2_lSA_SA_lT3_lSA_SA_lSB_T4_lSA_SA_l ; -- Begin function _ZN9rocsolver6v33100L16mfma_gemm_kernelI19rocblas_complex_numIdElPKS3_PS3_PKS6_S6_EEv18rocblas_operation_S9_T0_SA_SA_T1_T2_lSA_SA_lT3_lSA_SA_lSB_T4_lSA_SA_l
	.p2align	8
	.type	_ZN9rocsolver6v33100L16mfma_gemm_kernelI19rocblas_complex_numIdElPKS3_PS3_PKS6_S6_EEv18rocblas_operation_S9_T0_SA_SA_T1_T2_lSA_SA_lT3_lSA_SA_lSB_T4_lSA_SA_l,@function
_ZN9rocsolver6v33100L16mfma_gemm_kernelI19rocblas_complex_numIdElPKS3_PS3_PKS6_S6_EEv18rocblas_operation_S9_T0_SA_SA_T1_T2_lSA_SA_lT3_lSA_SA_lSB_T4_lSA_SA_l: ; @_ZN9rocsolver6v33100L16mfma_gemm_kernelI19rocblas_complex_numIdElPKS3_PS3_PKS6_S6_EEv18rocblas_operation_S9_T0_SA_SA_T1_T2_lSA_SA_lT3_lSA_SA_lSB_T4_lSA_SA_l
; %bb.0:
	s_endpgm
	.section	.rodata,"a",@progbits
	.p2align	6, 0x0
	.amdhsa_kernel _ZN9rocsolver6v33100L16mfma_gemm_kernelI19rocblas_complex_numIdElPKS3_PS3_PKS6_S6_EEv18rocblas_operation_S9_T0_SA_SA_T1_T2_lSA_SA_lT3_lSA_SA_lSB_T4_lSA_SA_l
		.amdhsa_group_segment_fixed_size 0
		.amdhsa_private_segment_fixed_size 0
		.amdhsa_kernarg_size 168
		.amdhsa_user_sgpr_count 6
		.amdhsa_user_sgpr_private_segment_buffer 1
		.amdhsa_user_sgpr_dispatch_ptr 0
		.amdhsa_user_sgpr_queue_ptr 0
		.amdhsa_user_sgpr_kernarg_segment_ptr 1
		.amdhsa_user_sgpr_dispatch_id 0
		.amdhsa_user_sgpr_flat_scratch_init 0
		.amdhsa_user_sgpr_private_segment_size 0
		.amdhsa_uses_dynamic_stack 0
		.amdhsa_system_sgpr_private_segment_wavefront_offset 0
		.amdhsa_system_sgpr_workgroup_id_x 1
		.amdhsa_system_sgpr_workgroup_id_y 0
		.amdhsa_system_sgpr_workgroup_id_z 0
		.amdhsa_system_sgpr_workgroup_info 0
		.amdhsa_system_vgpr_workitem_id 0
		.amdhsa_next_free_vgpr 1
		.amdhsa_next_free_sgpr 0
		.amdhsa_reserve_vcc 0
		.amdhsa_reserve_flat_scratch 0
		.amdhsa_float_round_mode_32 0
		.amdhsa_float_round_mode_16_64 0
		.amdhsa_float_denorm_mode_32 3
		.amdhsa_float_denorm_mode_16_64 3
		.amdhsa_dx10_clamp 1
		.amdhsa_ieee_mode 1
		.amdhsa_fp16_overflow 0
		.amdhsa_exception_fp_ieee_invalid_op 0
		.amdhsa_exception_fp_denorm_src 0
		.amdhsa_exception_fp_ieee_div_zero 0
		.amdhsa_exception_fp_ieee_overflow 0
		.amdhsa_exception_fp_ieee_underflow 0
		.amdhsa_exception_fp_ieee_inexact 0
		.amdhsa_exception_int_div_zero 0
	.end_amdhsa_kernel
	.section	.text._ZN9rocsolver6v33100L16mfma_gemm_kernelI19rocblas_complex_numIdElPKS3_PS3_PKS6_S6_EEv18rocblas_operation_S9_T0_SA_SA_T1_T2_lSA_SA_lT3_lSA_SA_lSB_T4_lSA_SA_l,"axG",@progbits,_ZN9rocsolver6v33100L16mfma_gemm_kernelI19rocblas_complex_numIdElPKS3_PS3_PKS6_S6_EEv18rocblas_operation_S9_T0_SA_SA_T1_T2_lSA_SA_lT3_lSA_SA_lSB_T4_lSA_SA_l,comdat
.Lfunc_end58:
	.size	_ZN9rocsolver6v33100L16mfma_gemm_kernelI19rocblas_complex_numIdElPKS3_PS3_PKS6_S6_EEv18rocblas_operation_S9_T0_SA_SA_T1_T2_lSA_SA_lT3_lSA_SA_lSB_T4_lSA_SA_l, .Lfunc_end58-_ZN9rocsolver6v33100L16mfma_gemm_kernelI19rocblas_complex_numIdElPKS3_PS3_PKS6_S6_EEv18rocblas_operation_S9_T0_SA_SA_T1_T2_lSA_SA_lT3_lSA_SA_lSB_T4_lSA_SA_l
                                        ; -- End function
	.set _ZN9rocsolver6v33100L16mfma_gemm_kernelI19rocblas_complex_numIdElPKS3_PS3_PKS6_S6_EEv18rocblas_operation_S9_T0_SA_SA_T1_T2_lSA_SA_lT3_lSA_SA_lSB_T4_lSA_SA_l.num_vgpr, 0
	.set _ZN9rocsolver6v33100L16mfma_gemm_kernelI19rocblas_complex_numIdElPKS3_PS3_PKS6_S6_EEv18rocblas_operation_S9_T0_SA_SA_T1_T2_lSA_SA_lT3_lSA_SA_lSB_T4_lSA_SA_l.num_agpr, 0
	.set _ZN9rocsolver6v33100L16mfma_gemm_kernelI19rocblas_complex_numIdElPKS3_PS3_PKS6_S6_EEv18rocblas_operation_S9_T0_SA_SA_T1_T2_lSA_SA_lT3_lSA_SA_lSB_T4_lSA_SA_l.numbered_sgpr, 0
	.set _ZN9rocsolver6v33100L16mfma_gemm_kernelI19rocblas_complex_numIdElPKS3_PS3_PKS6_S6_EEv18rocblas_operation_S9_T0_SA_SA_T1_T2_lSA_SA_lT3_lSA_SA_lSB_T4_lSA_SA_l.num_named_barrier, 0
	.set _ZN9rocsolver6v33100L16mfma_gemm_kernelI19rocblas_complex_numIdElPKS3_PS3_PKS6_S6_EEv18rocblas_operation_S9_T0_SA_SA_T1_T2_lSA_SA_lT3_lSA_SA_lSB_T4_lSA_SA_l.private_seg_size, 0
	.set _ZN9rocsolver6v33100L16mfma_gemm_kernelI19rocblas_complex_numIdElPKS3_PS3_PKS6_S6_EEv18rocblas_operation_S9_T0_SA_SA_T1_T2_lSA_SA_lT3_lSA_SA_lSB_T4_lSA_SA_l.uses_vcc, 0
	.set _ZN9rocsolver6v33100L16mfma_gemm_kernelI19rocblas_complex_numIdElPKS3_PS3_PKS6_S6_EEv18rocblas_operation_S9_T0_SA_SA_T1_T2_lSA_SA_lT3_lSA_SA_lSB_T4_lSA_SA_l.uses_flat_scratch, 0
	.set _ZN9rocsolver6v33100L16mfma_gemm_kernelI19rocblas_complex_numIdElPKS3_PS3_PKS6_S6_EEv18rocblas_operation_S9_T0_SA_SA_T1_T2_lSA_SA_lT3_lSA_SA_lSB_T4_lSA_SA_l.has_dyn_sized_stack, 0
	.set _ZN9rocsolver6v33100L16mfma_gemm_kernelI19rocblas_complex_numIdElPKS3_PS3_PKS6_S6_EEv18rocblas_operation_S9_T0_SA_SA_T1_T2_lSA_SA_lT3_lSA_SA_lSB_T4_lSA_SA_l.has_recursion, 0
	.set _ZN9rocsolver6v33100L16mfma_gemm_kernelI19rocblas_complex_numIdElPKS3_PS3_PKS6_S6_EEv18rocblas_operation_S9_T0_SA_SA_T1_T2_lSA_SA_lT3_lSA_SA_lSB_T4_lSA_SA_l.has_indirect_call, 0
	.section	.AMDGPU.csdata,"",@progbits
; Kernel info:
; codeLenInByte = 4
; TotalNumSgprs: 4
; NumVgprs: 0
; ScratchSize: 0
; MemoryBound: 0
; FloatMode: 240
; IeeeMode: 1
; LDSByteSize: 0 bytes/workgroup (compile time only)
; SGPRBlocks: 0
; VGPRBlocks: 0
; NumSGPRsForWavesPerEU: 4
; NumVGPRsForWavesPerEU: 1
; Occupancy: 10
; WaveLimiterHint : 0
; COMPUTE_PGM_RSRC2:SCRATCH_EN: 0
; COMPUTE_PGM_RSRC2:USER_SGPR: 6
; COMPUTE_PGM_RSRC2:TRAP_HANDLER: 0
; COMPUTE_PGM_RSRC2:TGID_X_EN: 1
; COMPUTE_PGM_RSRC2:TGID_Y_EN: 0
; COMPUTE_PGM_RSRC2:TGID_Z_EN: 0
; COMPUTE_PGM_RSRC2:TIDIG_COMP_CNT: 0
	.section	.text._ZN9rocsolver6v33100L16mfma_gemm_kernelI19rocblas_complex_numIdElS3_PS3_PKS4_S4_EEv18rocblas_operation_S7_T0_S8_S8_T1_T2_lS8_S8_lT3_lS8_S8_lS9_T4_lS8_S8_l,"axG",@progbits,_ZN9rocsolver6v33100L16mfma_gemm_kernelI19rocblas_complex_numIdElS3_PS3_PKS4_S4_EEv18rocblas_operation_S7_T0_S8_S8_T1_T2_lS8_S8_lT3_lS8_S8_lS9_T4_lS8_S8_l,comdat
	.globl	_ZN9rocsolver6v33100L16mfma_gemm_kernelI19rocblas_complex_numIdElS3_PS3_PKS4_S4_EEv18rocblas_operation_S7_T0_S8_S8_T1_T2_lS8_S8_lT3_lS8_S8_lS9_T4_lS8_S8_l ; -- Begin function _ZN9rocsolver6v33100L16mfma_gemm_kernelI19rocblas_complex_numIdElS3_PS3_PKS4_S4_EEv18rocblas_operation_S7_T0_S8_S8_T1_T2_lS8_S8_lT3_lS8_S8_lS9_T4_lS8_S8_l
	.p2align	8
	.type	_ZN9rocsolver6v33100L16mfma_gemm_kernelI19rocblas_complex_numIdElS3_PS3_PKS4_S4_EEv18rocblas_operation_S7_T0_S8_S8_T1_T2_lS8_S8_lT3_lS8_S8_lS9_T4_lS8_S8_l,@function
_ZN9rocsolver6v33100L16mfma_gemm_kernelI19rocblas_complex_numIdElS3_PS3_PKS4_S4_EEv18rocblas_operation_S7_T0_S8_S8_T1_T2_lS8_S8_lT3_lS8_S8_lS9_T4_lS8_S8_l: ; @_ZN9rocsolver6v33100L16mfma_gemm_kernelI19rocblas_complex_numIdElS3_PS3_PKS4_S4_EEv18rocblas_operation_S7_T0_S8_S8_T1_T2_lS8_S8_lT3_lS8_S8_lS9_T4_lS8_S8_l
; %bb.0:
	s_endpgm
	.section	.rodata,"a",@progbits
	.p2align	6, 0x0
	.amdhsa_kernel _ZN9rocsolver6v33100L16mfma_gemm_kernelI19rocblas_complex_numIdElS3_PS3_PKS4_S4_EEv18rocblas_operation_S7_T0_S8_S8_T1_T2_lS8_S8_lT3_lS8_S8_lS9_T4_lS8_S8_l
		.amdhsa_group_segment_fixed_size 0
		.amdhsa_private_segment_fixed_size 0
		.amdhsa_kernarg_size 184
		.amdhsa_user_sgpr_count 6
		.amdhsa_user_sgpr_private_segment_buffer 1
		.amdhsa_user_sgpr_dispatch_ptr 0
		.amdhsa_user_sgpr_queue_ptr 0
		.amdhsa_user_sgpr_kernarg_segment_ptr 1
		.amdhsa_user_sgpr_dispatch_id 0
		.amdhsa_user_sgpr_flat_scratch_init 0
		.amdhsa_user_sgpr_private_segment_size 0
		.amdhsa_uses_dynamic_stack 0
		.amdhsa_system_sgpr_private_segment_wavefront_offset 0
		.amdhsa_system_sgpr_workgroup_id_x 1
		.amdhsa_system_sgpr_workgroup_id_y 0
		.amdhsa_system_sgpr_workgroup_id_z 0
		.amdhsa_system_sgpr_workgroup_info 0
		.amdhsa_system_vgpr_workitem_id 0
		.amdhsa_next_free_vgpr 1
		.amdhsa_next_free_sgpr 0
		.amdhsa_reserve_vcc 0
		.amdhsa_reserve_flat_scratch 0
		.amdhsa_float_round_mode_32 0
		.amdhsa_float_round_mode_16_64 0
		.amdhsa_float_denorm_mode_32 3
		.amdhsa_float_denorm_mode_16_64 3
		.amdhsa_dx10_clamp 1
		.amdhsa_ieee_mode 1
		.amdhsa_fp16_overflow 0
		.amdhsa_exception_fp_ieee_invalid_op 0
		.amdhsa_exception_fp_denorm_src 0
		.amdhsa_exception_fp_ieee_div_zero 0
		.amdhsa_exception_fp_ieee_overflow 0
		.amdhsa_exception_fp_ieee_underflow 0
		.amdhsa_exception_fp_ieee_inexact 0
		.amdhsa_exception_int_div_zero 0
	.end_amdhsa_kernel
	.section	.text._ZN9rocsolver6v33100L16mfma_gemm_kernelI19rocblas_complex_numIdElS3_PS3_PKS4_S4_EEv18rocblas_operation_S7_T0_S8_S8_T1_T2_lS8_S8_lT3_lS8_S8_lS9_T4_lS8_S8_l,"axG",@progbits,_ZN9rocsolver6v33100L16mfma_gemm_kernelI19rocblas_complex_numIdElS3_PS3_PKS4_S4_EEv18rocblas_operation_S7_T0_S8_S8_T1_T2_lS8_S8_lT3_lS8_S8_lS9_T4_lS8_S8_l,comdat
.Lfunc_end59:
	.size	_ZN9rocsolver6v33100L16mfma_gemm_kernelI19rocblas_complex_numIdElS3_PS3_PKS4_S4_EEv18rocblas_operation_S7_T0_S8_S8_T1_T2_lS8_S8_lT3_lS8_S8_lS9_T4_lS8_S8_l, .Lfunc_end59-_ZN9rocsolver6v33100L16mfma_gemm_kernelI19rocblas_complex_numIdElS3_PS3_PKS4_S4_EEv18rocblas_operation_S7_T0_S8_S8_T1_T2_lS8_S8_lT3_lS8_S8_lS9_T4_lS8_S8_l
                                        ; -- End function
	.set _ZN9rocsolver6v33100L16mfma_gemm_kernelI19rocblas_complex_numIdElS3_PS3_PKS4_S4_EEv18rocblas_operation_S7_T0_S8_S8_T1_T2_lS8_S8_lT3_lS8_S8_lS9_T4_lS8_S8_l.num_vgpr, 0
	.set _ZN9rocsolver6v33100L16mfma_gemm_kernelI19rocblas_complex_numIdElS3_PS3_PKS4_S4_EEv18rocblas_operation_S7_T0_S8_S8_T1_T2_lS8_S8_lT3_lS8_S8_lS9_T4_lS8_S8_l.num_agpr, 0
	.set _ZN9rocsolver6v33100L16mfma_gemm_kernelI19rocblas_complex_numIdElS3_PS3_PKS4_S4_EEv18rocblas_operation_S7_T0_S8_S8_T1_T2_lS8_S8_lT3_lS8_S8_lS9_T4_lS8_S8_l.numbered_sgpr, 0
	.set _ZN9rocsolver6v33100L16mfma_gemm_kernelI19rocblas_complex_numIdElS3_PS3_PKS4_S4_EEv18rocblas_operation_S7_T0_S8_S8_T1_T2_lS8_S8_lT3_lS8_S8_lS9_T4_lS8_S8_l.num_named_barrier, 0
	.set _ZN9rocsolver6v33100L16mfma_gemm_kernelI19rocblas_complex_numIdElS3_PS3_PKS4_S4_EEv18rocblas_operation_S7_T0_S8_S8_T1_T2_lS8_S8_lT3_lS8_S8_lS9_T4_lS8_S8_l.private_seg_size, 0
	.set _ZN9rocsolver6v33100L16mfma_gemm_kernelI19rocblas_complex_numIdElS3_PS3_PKS4_S4_EEv18rocblas_operation_S7_T0_S8_S8_T1_T2_lS8_S8_lT3_lS8_S8_lS9_T4_lS8_S8_l.uses_vcc, 0
	.set _ZN9rocsolver6v33100L16mfma_gemm_kernelI19rocblas_complex_numIdElS3_PS3_PKS4_S4_EEv18rocblas_operation_S7_T0_S8_S8_T1_T2_lS8_S8_lT3_lS8_S8_lS9_T4_lS8_S8_l.uses_flat_scratch, 0
	.set _ZN9rocsolver6v33100L16mfma_gemm_kernelI19rocblas_complex_numIdElS3_PS3_PKS4_S4_EEv18rocblas_operation_S7_T0_S8_S8_T1_T2_lS8_S8_lT3_lS8_S8_lS9_T4_lS8_S8_l.has_dyn_sized_stack, 0
	.set _ZN9rocsolver6v33100L16mfma_gemm_kernelI19rocblas_complex_numIdElS3_PS3_PKS4_S4_EEv18rocblas_operation_S7_T0_S8_S8_T1_T2_lS8_S8_lT3_lS8_S8_lS9_T4_lS8_S8_l.has_recursion, 0
	.set _ZN9rocsolver6v33100L16mfma_gemm_kernelI19rocblas_complex_numIdElS3_PS3_PKS4_S4_EEv18rocblas_operation_S7_T0_S8_S8_T1_T2_lS8_S8_lT3_lS8_S8_lS9_T4_lS8_S8_l.has_indirect_call, 0
	.section	.AMDGPU.csdata,"",@progbits
; Kernel info:
; codeLenInByte = 4
; TotalNumSgprs: 4
; NumVgprs: 0
; ScratchSize: 0
; MemoryBound: 0
; FloatMode: 240
; IeeeMode: 1
; LDSByteSize: 0 bytes/workgroup (compile time only)
; SGPRBlocks: 0
; VGPRBlocks: 0
; NumSGPRsForWavesPerEU: 4
; NumVGPRsForWavesPerEU: 1
; Occupancy: 10
; WaveLimiterHint : 0
; COMPUTE_PGM_RSRC2:SCRATCH_EN: 0
; COMPUTE_PGM_RSRC2:USER_SGPR: 6
; COMPUTE_PGM_RSRC2:TRAP_HANDLER: 0
; COMPUTE_PGM_RSRC2:TGID_X_EN: 1
; COMPUTE_PGM_RSRC2:TGID_Y_EN: 0
; COMPUTE_PGM_RSRC2:TGID_Z_EN: 0
; COMPUTE_PGM_RSRC2:TIDIG_COMP_CNT: 0
	.section	.text._ZN9rocsolver6v33100L11gemm_kernelI19rocblas_complex_numIdElPKS3_PS3_PKS6_S6_EEvT0_S9_S9_T1_bT2_lS9_S9_lbT3_lS9_S9_lSA_T4_lS9_S9_l,"axG",@progbits,_ZN9rocsolver6v33100L11gemm_kernelI19rocblas_complex_numIdElPKS3_PS3_PKS6_S6_EEvT0_S9_S9_T1_bT2_lS9_S9_lbT3_lS9_S9_lSA_T4_lS9_S9_l,comdat
	.globl	_ZN9rocsolver6v33100L11gemm_kernelI19rocblas_complex_numIdElPKS3_PS3_PKS6_S6_EEvT0_S9_S9_T1_bT2_lS9_S9_lbT3_lS9_S9_lSA_T4_lS9_S9_l ; -- Begin function _ZN9rocsolver6v33100L11gemm_kernelI19rocblas_complex_numIdElPKS3_PS3_PKS6_S6_EEvT0_S9_S9_T1_bT2_lS9_S9_lbT3_lS9_S9_lSA_T4_lS9_S9_l
	.p2align	8
	.type	_ZN9rocsolver6v33100L11gemm_kernelI19rocblas_complex_numIdElPKS3_PS3_PKS6_S6_EEvT0_S9_S9_T1_bT2_lS9_S9_lbT3_lS9_S9_lSA_T4_lS9_S9_l,@function
_ZN9rocsolver6v33100L11gemm_kernelI19rocblas_complex_numIdElPKS3_PS3_PKS6_S6_EEvT0_S9_S9_T1_bT2_lS9_S9_lbT3_lS9_S9_lSA_T4_lS9_S9_l: ; @_ZN9rocsolver6v33100L11gemm_kernelI19rocblas_complex_numIdElPKS3_PS3_PKS6_S6_EEvT0_S9_S9_T1_bT2_lS9_S9_lbT3_lS9_S9_lSA_T4_lS9_S9_l
; %bb.0:
	s_load_dword s0, s[4:5], 0xbc
	s_load_dwordx8 s[16:23], s[4:5], 0x0
	v_mov_b32_e32 v2, v0
	v_mov_b32_e32 v3, 0
	;; [unrolled: 1-line block ×3, first 2 shown]
	s_waitcnt lgkmcnt(0)
	s_lshr_b32 s2, s0, 16
	s_and_b32 s0, s0, 0xffff
	v_mad_u64_u32 v[4:5], s[0:1], s0, v0, v[2:3]
	v_mov_b32_e32 v2, v3
	v_mov_b32_e32 v0, s7
	v_mad_u64_u32 v[0:1], s[0:1], s2, v0, v[1:2]
	v_cmp_gt_i64_e32 vcc, s[16:17], v[4:5]
	v_cmp_gt_i64_e64 s[0:1], s[18:19], v[0:1]
	s_and_b64 s[0:1], vcc, s[0:1]
	s_and_saveexec_b64 s[2:3], s[0:1]
	s_cbranch_execz .LBB60_6
; %bb.1:
	s_load_dwordx8 s[12:19], s[4:5], 0x80
	s_load_dwordx4 s[44:47], s[4:5], 0xa0
	v_cmp_lt_i64_e64 s[0:1], s[20:21], 1
	s_mov_b32 s9, 0
	s_and_b64 vcc, exec, s[0:1]
	s_cbranch_vccnz .LBB60_4
; %bb.2:
	s_load_dword s6, s[4:5], 0x20
	s_load_dwordx8 s[36:43], s[4:5], 0x58
	s_load_dwordx8 s[24:31], s[4:5], 0x28
	s_load_dwordx2 s[10:11], s[4:5], 0x48
	s_load_dword s7, s[4:5], 0x50
	s_lshl_b64 s[0:1], s[8:9], 3
	s_waitcnt lgkmcnt(0)
	s_add_u32 s0, s36, s0
	s_addc_u32 s1, s37, s1
	s_load_dwordx2 s[2:3], s[0:1], 0x0
	v_mul_lo_u32 v6, v1, s42
	v_mul_lo_u32 v7, v0, s43
	v_mad_u64_u32 v[2:3], s[4:5], v0, s42, 0
	s_bitcmp1_b32 s6, 0
	s_cselect_b64 vcc, -1, 0
	s_bitcmp1_b32 s7, 0
	s_cselect_b64 s[0:1], -1, 0
	s_lshl_b64 s[4:5], s[38:39], 4
	s_waitcnt lgkmcnt(0)
	s_add_u32 s4, s2, s4
	v_add3_u32 v3, v3, v7, v6
	s_addc_u32 s2, s3, s5
	v_lshlrev_b64 v[2:3], 4, v[2:3]
	v_mov_b32_e32 v9, s2
	v_mad_u64_u32 v[6:7], s[2:3], s28, v4, 0
	v_add_co_u32_e64 v8, s[2:3], s4, v2
	v_addc_co_u32_e64 v9, s[2:3], v9, v3, s[2:3]
	v_mul_lo_u32 v10, s29, v4
	v_mul_lo_u32 v11, s28, v5
	s_mul_i32 s2, s11, s8
	s_mul_hi_u32 s3, s10, s8
	s_add_i32 s3, s3, s2
	s_mul_i32 s2, s10, s8
	s_lshl_b64 s[6:7], s[40:41], 4
	s_lshl_b64 s[2:3], s[2:3], 4
	;; [unrolled: 1-line block ×3, first 2 shown]
	s_add_u32 s4, s24, s4
	v_add3_u32 v7, v7, v11, v10
	s_addc_u32 s5, s25, s5
	v_lshlrev_b64 v[2:3], 4, v[6:7]
	s_add_u32 s2, s4, s2
	s_addc_u32 s3, s5, s3
	v_mov_b32_e32 v6, s3
	v_add_co_u32_e64 v2, s[2:3], s2, v2
	v_addc_co_u32_e64 v3, s[2:3], v6, v3, s[2:3]
	v_add_co_u32_e64 v10, s[2:3], 8, v2
	v_addc_co_u32_e64 v11, s[2:3], 0, v3, s[2:3]
	s_lshl_b64 s[10:11], s[30:31], 4
	v_mov_b32_e32 v2, 0
	v_mov_b32_e32 v6, 0
	;; [unrolled: 1-line block ×6, first 2 shown]
.LBB60_3:                               ; =>This Inner Loop Header: Depth=1
	global_load_dwordx4 v[14:17], v[10:11], off offset:-8
	flat_load_dwordx4 v[18:21], v[8:9]
	s_add_u32 s20, s20, -1
	v_add_co_u32_e64 v10, s[2:3], s10, v10
	v_add_co_u32_e64 v8, s[4:5], s6, v8
	s_addc_u32 s21, s21, -1
	v_addc_co_u32_e64 v9, s[4:5], v9, v12, s[4:5]
	s_cmp_eq_u64 s[20:21], 0
	v_addc_co_u32_e64 v11, s[2:3], v11, v13, s[2:3]
	s_waitcnt vmcnt(0)
	v_xor_b32_e32 v22, 0x80000000, v17
	s_waitcnt lgkmcnt(0)
	v_xor_b32_e32 v23, 0x80000000, v21
	v_cndmask_b32_e32 v17, v17, v22, vcc
	v_cndmask_b32_e64 v21, v21, v23, s[0:1]
	v_mul_f64 v[22:23], v[16:17], v[20:21]
	v_mul_f64 v[16:17], v[16:17], v[18:19]
	v_fma_f64 v[18:19], v[14:15], v[18:19], -v[22:23]
	v_fma_f64 v[14:15], v[14:15], v[20:21], v[16:17]
	v_add_f64 v[6:7], v[6:7], v[18:19]
	v_add_f64 v[2:3], v[2:3], v[14:15]
	s_cbranch_scc0 .LBB60_3
	s_branch .LBB60_5
.LBB60_4:
	v_mov_b32_e32 v2, 0
	v_mov_b32_e32 v6, 0
	;; [unrolled: 1-line block ×4, first 2 shown]
.LBB60_5:
	s_waitcnt lgkmcnt(0)
	s_mul_i32 s9, s47, s8
	s_mul_hi_u32 s10, s46, s8
	s_add_i32 s9, s10, s9
	v_mul_lo_u32 v8, v5, s18
	v_mul_lo_u32 v9, v4, s19
	v_mad_u64_u32 v[4:5], s[10:11], v4, s18, 0
	s_mul_i32 s8, s46, s8
	s_lshl_b64 s[8:9], s[8:9], 4
	v_mul_lo_u32 v10, v1, s44
	v_mul_lo_u32 v11, v0, s45
	v_mad_u64_u32 v[0:1], s[10:11], v0, s44, 0
	s_load_dwordx4 s[4:7], s[22:23], 0x0
	s_load_dwordx4 s[0:3], s[12:13], 0x0
	s_add_u32 s12, s14, s8
	s_addc_u32 s13, s15, s9
	s_lshl_b64 s[8:9], s[16:17], 4
	v_add3_u32 v5, v5, v9, v8
	s_add_u32 s8, s12, s8
	v_lshlrev_b64 v[4:5], 4, v[4:5]
	s_addc_u32 s9, s13, s9
	v_add3_u32 v1, v1, v11, v10
	v_mov_b32_e32 v8, s9
	v_add_co_u32_e32 v4, vcc, s8, v4
	v_lshlrev_b64 v[0:1], 4, v[0:1]
	v_addc_co_u32_e32 v5, vcc, v8, v5, vcc
	v_add_co_u32_e32 v4, vcc, v4, v0
	v_addc_co_u32_e32 v5, vcc, v5, v1, vcc
	global_load_dwordx4 v[8:11], v[4:5], off
	s_waitcnt lgkmcnt(0)
	v_mul_f64 v[0:1], s[6:7], v[2:3]
	v_mul_f64 v[2:3], s[4:5], v[2:3]
	v_fma_f64 v[0:1], s[4:5], v[6:7], -v[0:1]
	v_fma_f64 v[2:3], s[6:7], v[6:7], v[2:3]
	s_waitcnt vmcnt(0)
	v_mul_f64 v[12:13], s[2:3], v[10:11]
	v_mul_f64 v[10:11], s[0:1], v[10:11]
	v_fma_f64 v[6:7], s[0:1], v[8:9], -v[12:13]
	v_fma_f64 v[8:9], s[2:3], v[8:9], v[10:11]
	v_add_f64 v[0:1], v[0:1], v[6:7]
	v_add_f64 v[2:3], v[2:3], v[8:9]
	global_store_dwordx4 v[4:5], v[0:3], off
.LBB60_6:
	s_endpgm
	.section	.rodata,"a",@progbits
	.p2align	6, 0x0
	.amdhsa_kernel _ZN9rocsolver6v33100L11gemm_kernelI19rocblas_complex_numIdElPKS3_PS3_PKS6_S6_EEvT0_S9_S9_T1_bT2_lS9_S9_lbT3_lS9_S9_lSA_T4_lS9_S9_l
		.amdhsa_group_segment_fixed_size 0
		.amdhsa_private_segment_fixed_size 0
		.amdhsa_kernarg_size 432
		.amdhsa_user_sgpr_count 6
		.amdhsa_user_sgpr_private_segment_buffer 1
		.amdhsa_user_sgpr_dispatch_ptr 0
		.amdhsa_user_sgpr_queue_ptr 0
		.amdhsa_user_sgpr_kernarg_segment_ptr 1
		.amdhsa_user_sgpr_dispatch_id 0
		.amdhsa_user_sgpr_flat_scratch_init 0
		.amdhsa_user_sgpr_private_segment_size 0
		.amdhsa_uses_dynamic_stack 0
		.amdhsa_system_sgpr_private_segment_wavefront_offset 0
		.amdhsa_system_sgpr_workgroup_id_x 1
		.amdhsa_system_sgpr_workgroup_id_y 1
		.amdhsa_system_sgpr_workgroup_id_z 1
		.amdhsa_system_sgpr_workgroup_info 0
		.amdhsa_system_vgpr_workitem_id 1
		.amdhsa_next_free_vgpr 24
		.amdhsa_next_free_sgpr 48
		.amdhsa_reserve_vcc 1
		.amdhsa_reserve_flat_scratch 0
		.amdhsa_float_round_mode_32 0
		.amdhsa_float_round_mode_16_64 0
		.amdhsa_float_denorm_mode_32 3
		.amdhsa_float_denorm_mode_16_64 3
		.amdhsa_dx10_clamp 1
		.amdhsa_ieee_mode 1
		.amdhsa_fp16_overflow 0
		.amdhsa_exception_fp_ieee_invalid_op 0
		.amdhsa_exception_fp_denorm_src 0
		.amdhsa_exception_fp_ieee_div_zero 0
		.amdhsa_exception_fp_ieee_overflow 0
		.amdhsa_exception_fp_ieee_underflow 0
		.amdhsa_exception_fp_ieee_inexact 0
		.amdhsa_exception_int_div_zero 0
	.end_amdhsa_kernel
	.section	.text._ZN9rocsolver6v33100L11gemm_kernelI19rocblas_complex_numIdElPKS3_PS3_PKS6_S6_EEvT0_S9_S9_T1_bT2_lS9_S9_lbT3_lS9_S9_lSA_T4_lS9_S9_l,"axG",@progbits,_ZN9rocsolver6v33100L11gemm_kernelI19rocblas_complex_numIdElPKS3_PS3_PKS6_S6_EEvT0_S9_S9_T1_bT2_lS9_S9_lbT3_lS9_S9_lSA_T4_lS9_S9_l,comdat
.Lfunc_end60:
	.size	_ZN9rocsolver6v33100L11gemm_kernelI19rocblas_complex_numIdElPKS3_PS3_PKS6_S6_EEvT0_S9_S9_T1_bT2_lS9_S9_lbT3_lS9_S9_lSA_T4_lS9_S9_l, .Lfunc_end60-_ZN9rocsolver6v33100L11gemm_kernelI19rocblas_complex_numIdElPKS3_PS3_PKS6_S6_EEvT0_S9_S9_T1_bT2_lS9_S9_lbT3_lS9_S9_lSA_T4_lS9_S9_l
                                        ; -- End function
	.set _ZN9rocsolver6v33100L11gemm_kernelI19rocblas_complex_numIdElPKS3_PS3_PKS6_S6_EEvT0_S9_S9_T1_bT2_lS9_S9_lbT3_lS9_S9_lSA_T4_lS9_S9_l.num_vgpr, 24
	.set _ZN9rocsolver6v33100L11gemm_kernelI19rocblas_complex_numIdElPKS3_PS3_PKS6_S6_EEvT0_S9_S9_T1_bT2_lS9_S9_lbT3_lS9_S9_lSA_T4_lS9_S9_l.num_agpr, 0
	.set _ZN9rocsolver6v33100L11gemm_kernelI19rocblas_complex_numIdElPKS3_PS3_PKS6_S6_EEvT0_S9_S9_T1_bT2_lS9_S9_lbT3_lS9_S9_lSA_T4_lS9_S9_l.numbered_sgpr, 48
	.set _ZN9rocsolver6v33100L11gemm_kernelI19rocblas_complex_numIdElPKS3_PS3_PKS6_S6_EEvT0_S9_S9_T1_bT2_lS9_S9_lbT3_lS9_S9_lSA_T4_lS9_S9_l.num_named_barrier, 0
	.set _ZN9rocsolver6v33100L11gemm_kernelI19rocblas_complex_numIdElPKS3_PS3_PKS6_S6_EEvT0_S9_S9_T1_bT2_lS9_S9_lbT3_lS9_S9_lSA_T4_lS9_S9_l.private_seg_size, 0
	.set _ZN9rocsolver6v33100L11gemm_kernelI19rocblas_complex_numIdElPKS3_PS3_PKS6_S6_EEvT0_S9_S9_T1_bT2_lS9_S9_lbT3_lS9_S9_lSA_T4_lS9_S9_l.uses_vcc, 1
	.set _ZN9rocsolver6v33100L11gemm_kernelI19rocblas_complex_numIdElPKS3_PS3_PKS6_S6_EEvT0_S9_S9_T1_bT2_lS9_S9_lbT3_lS9_S9_lSA_T4_lS9_S9_l.uses_flat_scratch, 0
	.set _ZN9rocsolver6v33100L11gemm_kernelI19rocblas_complex_numIdElPKS3_PS3_PKS6_S6_EEvT0_S9_S9_T1_bT2_lS9_S9_lbT3_lS9_S9_lSA_T4_lS9_S9_l.has_dyn_sized_stack, 0
	.set _ZN9rocsolver6v33100L11gemm_kernelI19rocblas_complex_numIdElPKS3_PS3_PKS6_S6_EEvT0_S9_S9_T1_bT2_lS9_S9_lbT3_lS9_S9_lSA_T4_lS9_S9_l.has_recursion, 0
	.set _ZN9rocsolver6v33100L11gemm_kernelI19rocblas_complex_numIdElPKS3_PS3_PKS6_S6_EEvT0_S9_S9_T1_bT2_lS9_S9_lbT3_lS9_S9_lSA_T4_lS9_S9_l.has_indirect_call, 0
	.section	.AMDGPU.csdata,"",@progbits
; Kernel info:
; codeLenInByte = 868
; TotalNumSgprs: 52
; NumVgprs: 24
; ScratchSize: 0
; MemoryBound: 0
; FloatMode: 240
; IeeeMode: 1
; LDSByteSize: 0 bytes/workgroup (compile time only)
; SGPRBlocks: 6
; VGPRBlocks: 5
; NumSGPRsForWavesPerEU: 52
; NumVGPRsForWavesPerEU: 24
; Occupancy: 10
; WaveLimiterHint : 0
; COMPUTE_PGM_RSRC2:SCRATCH_EN: 0
; COMPUTE_PGM_RSRC2:USER_SGPR: 6
; COMPUTE_PGM_RSRC2:TRAP_HANDLER: 0
; COMPUTE_PGM_RSRC2:TGID_X_EN: 1
; COMPUTE_PGM_RSRC2:TGID_Y_EN: 1
; COMPUTE_PGM_RSRC2:TGID_Z_EN: 1
; COMPUTE_PGM_RSRC2:TIDIG_COMP_CNT: 1
	.section	.text._ZN9rocsolver6v33100L11gemm_kernelI19rocblas_complex_numIdElS3_PS3_PKS4_S4_EEvT0_S7_S7_T1_bT2_lS7_S7_lbT3_lS7_S7_lS8_T4_lS7_S7_l,"axG",@progbits,_ZN9rocsolver6v33100L11gemm_kernelI19rocblas_complex_numIdElS3_PS3_PKS4_S4_EEvT0_S7_S7_T1_bT2_lS7_S7_lbT3_lS7_S7_lS8_T4_lS7_S7_l,comdat
	.globl	_ZN9rocsolver6v33100L11gemm_kernelI19rocblas_complex_numIdElS3_PS3_PKS4_S4_EEvT0_S7_S7_T1_bT2_lS7_S7_lbT3_lS7_S7_lS8_T4_lS7_S7_l ; -- Begin function _ZN9rocsolver6v33100L11gemm_kernelI19rocblas_complex_numIdElS3_PS3_PKS4_S4_EEvT0_S7_S7_T1_bT2_lS7_S7_lbT3_lS7_S7_lS8_T4_lS7_S7_l
	.p2align	8
	.type	_ZN9rocsolver6v33100L11gemm_kernelI19rocblas_complex_numIdElS3_PS3_PKS4_S4_EEvT0_S7_S7_T1_bT2_lS7_S7_lbT3_lS7_S7_lS8_T4_lS7_S7_l,@function
_ZN9rocsolver6v33100L11gemm_kernelI19rocblas_complex_numIdElS3_PS3_PKS4_S4_EEvT0_S7_S7_T1_bT2_lS7_S7_lbT3_lS7_S7_lS8_T4_lS7_S7_l: ; @_ZN9rocsolver6v33100L11gemm_kernelI19rocblas_complex_numIdElS3_PS3_PKS4_S4_EEvT0_S7_S7_T1_bT2_lS7_S7_lbT3_lS7_S7_lS8_T4_lS7_S7_l
; %bb.0:
	s_load_dword s0, s[4:5], 0xcc
	s_load_dwordx8 s[12:19], s[4:5], 0x0
	v_mov_b32_e32 v2, v0
	v_mov_b32_e32 v3, 0
	;; [unrolled: 1-line block ×3, first 2 shown]
	s_waitcnt lgkmcnt(0)
	s_lshr_b32 s2, s0, 16
	s_and_b32 s0, s0, 0xffff
	v_mad_u64_u32 v[4:5], s[0:1], s0, v0, v[2:3]
	v_mov_b32_e32 v2, v3
	v_mov_b32_e32 v0, s7
	v_mad_u64_u32 v[0:1], s[0:1], s2, v0, v[1:2]
	v_cmp_gt_i64_e32 vcc, s[12:13], v[4:5]
	v_cmp_gt_i64_e64 s[0:1], s[14:15], v[0:1]
	s_and_b64 s[0:1], vcc, s[0:1]
	s_and_saveexec_b64 s[2:3], s[0:1]
	s_cbranch_execz .LBB61_6
; %bb.1:
	s_load_dwordx2 s[6:7], s[4:5], 0x20
	s_load_dwordx8 s[20:27], s[4:5], 0x88
	s_load_dwordx4 s[12:15], s[4:5], 0xa8
	s_load_dwordx2 s[10:11], s[4:5], 0xb8
	v_cmp_lt_i64_e64 s[0:1], s[16:17], 1
	s_mov_b32 s9, 0
	s_and_b64 vcc, exec, s[0:1]
	s_cbranch_vccnz .LBB61_4
; %bb.2:
	s_load_dword s28, s[4:5], 0x28
	s_load_dwordx8 s[44:51], s[4:5], 0x60
	s_load_dwordx8 s[36:43], s[4:5], 0x30
	s_load_dwordx2 s[30:31], s[4:5], 0x50
	s_load_dword s29, s[4:5], 0x58
	s_lshl_b64 s[0:1], s[8:9], 3
	s_waitcnt lgkmcnt(0)
	s_add_u32 s0, s44, s0
	s_addc_u32 s1, s45, s1
	s_load_dwordx2 s[2:3], s[0:1], 0x0
	v_mul_lo_u32 v6, v1, s50
	v_mul_lo_u32 v7, v0, s51
	v_mad_u64_u32 v[2:3], s[4:5], v0, s50, 0
	s_bitcmp1_b32 s28, 0
	s_cselect_b64 vcc, -1, 0
	s_bitcmp1_b32 s29, 0
	s_cselect_b64 s[0:1], -1, 0
	s_lshl_b64 s[4:5], s[46:47], 4
	s_waitcnt lgkmcnt(0)
	s_add_u32 s4, s2, s4
	v_add3_u32 v3, v3, v7, v6
	s_addc_u32 s2, s3, s5
	v_lshlrev_b64 v[2:3], 4, v[2:3]
	v_mov_b32_e32 v9, s2
	v_mad_u64_u32 v[6:7], s[2:3], s40, v4, 0
	v_add_co_u32_e64 v8, s[2:3], s4, v2
	v_addc_co_u32_e64 v9, s[2:3], v9, v3, s[2:3]
	v_mul_lo_u32 v10, s41, v4
	v_mul_lo_u32 v11, s40, v5
	s_mul_i32 s2, s31, s8
	s_mul_hi_u32 s3, s30, s8
	s_add_i32 s3, s3, s2
	s_mul_i32 s2, s30, s8
	s_lshl_b64 s[28:29], s[48:49], 4
	s_lshl_b64 s[2:3], s[2:3], 4
	;; [unrolled: 1-line block ×3, first 2 shown]
	s_add_u32 s4, s36, s4
	v_add3_u32 v7, v7, v11, v10
	s_addc_u32 s5, s37, s5
	v_lshlrev_b64 v[2:3], 4, v[6:7]
	s_add_u32 s2, s4, s2
	s_addc_u32 s3, s5, s3
	v_mov_b32_e32 v6, s3
	v_add_co_u32_e64 v2, s[2:3], s2, v2
	v_addc_co_u32_e64 v3, s[2:3], v6, v3, s[2:3]
	v_add_co_u32_e64 v10, s[2:3], 8, v2
	v_addc_co_u32_e64 v11, s[2:3], 0, v3, s[2:3]
	s_lshl_b64 s[30:31], s[42:43], 4
	v_mov_b32_e32 v2, 0
	v_mov_b32_e32 v6, 0
	;; [unrolled: 1-line block ×6, first 2 shown]
.LBB61_3:                               ; =>This Inner Loop Header: Depth=1
	global_load_dwordx4 v[14:17], v[10:11], off offset:-8
	flat_load_dwordx4 v[18:21], v[8:9]
	s_add_u32 s16, s16, -1
	v_add_co_u32_e64 v10, s[2:3], s30, v10
	v_add_co_u32_e64 v8, s[4:5], s28, v8
	s_addc_u32 s17, s17, -1
	v_addc_co_u32_e64 v9, s[4:5], v9, v12, s[4:5]
	s_cmp_eq_u64 s[16:17], 0
	v_addc_co_u32_e64 v11, s[2:3], v11, v13, s[2:3]
	s_waitcnt vmcnt(0)
	v_xor_b32_e32 v22, 0x80000000, v17
	s_waitcnt lgkmcnt(0)
	v_xor_b32_e32 v23, 0x80000000, v21
	v_cndmask_b32_e32 v17, v17, v22, vcc
	v_cndmask_b32_e64 v21, v21, v23, s[0:1]
	v_mul_f64 v[22:23], v[16:17], v[20:21]
	v_mul_f64 v[16:17], v[16:17], v[18:19]
	v_fma_f64 v[18:19], v[14:15], v[18:19], -v[22:23]
	v_fma_f64 v[14:15], v[14:15], v[20:21], v[16:17]
	v_add_f64 v[6:7], v[6:7], v[18:19]
	v_add_f64 v[2:3], v[2:3], v[14:15]
	s_cbranch_scc0 .LBB61_3
	s_branch .LBB61_5
.LBB61_4:
	v_mov_b32_e32 v2, 0
	v_mov_b32_e32 v6, 0
	;; [unrolled: 1-line block ×4, first 2 shown]
.LBB61_5:
	s_waitcnt lgkmcnt(0)
	s_mul_i32 s0, s11, s8
	s_mul_hi_u32 s1, s10, s8
	v_mul_lo_u32 v8, v5, s12
	v_mul_lo_u32 v9, v4, s13
	v_mad_u64_u32 v[4:5], s[2:3], v4, s12, 0
	s_add_i32 s1, s1, s0
	s_mul_i32 s0, s10, s8
	s_lshl_b64 s[0:1], s[0:1], 4
	v_mul_lo_u32 v10, v1, s14
	v_mul_lo_u32 v11, v0, s15
	v_mad_u64_u32 v[0:1], s[2:3], v0, s14, 0
	s_add_u32 s4, s24, s0
	s_addc_u32 s5, s25, s1
	s_lshl_b64 s[0:1], s[26:27], 4
	v_add3_u32 v5, v5, v9, v8
	s_add_u32 s0, s4, s0
	v_lshlrev_b64 v[4:5], 4, v[4:5]
	s_addc_u32 s1, s5, s1
	v_add3_u32 v1, v1, v11, v10
	v_mov_b32_e32 v8, s1
	v_add_co_u32_e32 v4, vcc, s0, v4
	v_lshlrev_b64 v[0:1], 4, v[0:1]
	v_addc_co_u32_e32 v5, vcc, v8, v5, vcc
	v_add_co_u32_e32 v4, vcc, v4, v0
	v_addc_co_u32_e32 v5, vcc, v5, v1, vcc
	global_load_dwordx4 v[8:11], v[4:5], off
	v_mul_f64 v[0:1], s[6:7], v[2:3]
	v_mul_f64 v[2:3], s[18:19], v[2:3]
	v_fma_f64 v[0:1], s[18:19], v[6:7], -v[0:1]
	v_fma_f64 v[2:3], s[6:7], v[6:7], v[2:3]
	s_waitcnt vmcnt(0)
	v_mul_f64 v[12:13], s[22:23], v[10:11]
	v_mul_f64 v[10:11], s[20:21], v[10:11]
	v_fma_f64 v[6:7], s[20:21], v[8:9], -v[12:13]
	v_fma_f64 v[8:9], s[22:23], v[8:9], v[10:11]
	v_add_f64 v[0:1], v[0:1], v[6:7]
	v_add_f64 v[2:3], v[2:3], v[8:9]
	global_store_dwordx4 v[4:5], v[0:3], off
.LBB61_6:
	s_endpgm
	.section	.rodata,"a",@progbits
	.p2align	6, 0x0
	.amdhsa_kernel _ZN9rocsolver6v33100L11gemm_kernelI19rocblas_complex_numIdElS3_PS3_PKS4_S4_EEvT0_S7_S7_T1_bT2_lS7_S7_lbT3_lS7_S7_lS8_T4_lS7_S7_l
		.amdhsa_group_segment_fixed_size 0
		.amdhsa_private_segment_fixed_size 0
		.amdhsa_kernarg_size 448
		.amdhsa_user_sgpr_count 6
		.amdhsa_user_sgpr_private_segment_buffer 1
		.amdhsa_user_sgpr_dispatch_ptr 0
		.amdhsa_user_sgpr_queue_ptr 0
		.amdhsa_user_sgpr_kernarg_segment_ptr 1
		.amdhsa_user_sgpr_dispatch_id 0
		.amdhsa_user_sgpr_flat_scratch_init 0
		.amdhsa_user_sgpr_private_segment_size 0
		.amdhsa_uses_dynamic_stack 0
		.amdhsa_system_sgpr_private_segment_wavefront_offset 0
		.amdhsa_system_sgpr_workgroup_id_x 1
		.amdhsa_system_sgpr_workgroup_id_y 1
		.amdhsa_system_sgpr_workgroup_id_z 1
		.amdhsa_system_sgpr_workgroup_info 0
		.amdhsa_system_vgpr_workitem_id 1
		.amdhsa_next_free_vgpr 24
		.amdhsa_next_free_sgpr 52
		.amdhsa_reserve_vcc 1
		.amdhsa_reserve_flat_scratch 0
		.amdhsa_float_round_mode_32 0
		.amdhsa_float_round_mode_16_64 0
		.amdhsa_float_denorm_mode_32 3
		.amdhsa_float_denorm_mode_16_64 3
		.amdhsa_dx10_clamp 1
		.amdhsa_ieee_mode 1
		.amdhsa_fp16_overflow 0
		.amdhsa_exception_fp_ieee_invalid_op 0
		.amdhsa_exception_fp_denorm_src 0
		.amdhsa_exception_fp_ieee_div_zero 0
		.amdhsa_exception_fp_ieee_overflow 0
		.amdhsa_exception_fp_ieee_underflow 0
		.amdhsa_exception_fp_ieee_inexact 0
		.amdhsa_exception_int_div_zero 0
	.end_amdhsa_kernel
	.section	.text._ZN9rocsolver6v33100L11gemm_kernelI19rocblas_complex_numIdElS3_PS3_PKS4_S4_EEvT0_S7_S7_T1_bT2_lS7_S7_lbT3_lS7_S7_lS8_T4_lS7_S7_l,"axG",@progbits,_ZN9rocsolver6v33100L11gemm_kernelI19rocblas_complex_numIdElS3_PS3_PKS4_S4_EEvT0_S7_S7_T1_bT2_lS7_S7_lbT3_lS7_S7_lS8_T4_lS7_S7_l,comdat
.Lfunc_end61:
	.size	_ZN9rocsolver6v33100L11gemm_kernelI19rocblas_complex_numIdElS3_PS3_PKS4_S4_EEvT0_S7_S7_T1_bT2_lS7_S7_lbT3_lS7_S7_lS8_T4_lS7_S7_l, .Lfunc_end61-_ZN9rocsolver6v33100L11gemm_kernelI19rocblas_complex_numIdElS3_PS3_PKS4_S4_EEvT0_S7_S7_T1_bT2_lS7_S7_lbT3_lS7_S7_lS8_T4_lS7_S7_l
                                        ; -- End function
	.set _ZN9rocsolver6v33100L11gemm_kernelI19rocblas_complex_numIdElS3_PS3_PKS4_S4_EEvT0_S7_S7_T1_bT2_lS7_S7_lbT3_lS7_S7_lS8_T4_lS7_S7_l.num_vgpr, 24
	.set _ZN9rocsolver6v33100L11gemm_kernelI19rocblas_complex_numIdElS3_PS3_PKS4_S4_EEvT0_S7_S7_T1_bT2_lS7_S7_lbT3_lS7_S7_lS8_T4_lS7_S7_l.num_agpr, 0
	.set _ZN9rocsolver6v33100L11gemm_kernelI19rocblas_complex_numIdElS3_PS3_PKS4_S4_EEvT0_S7_S7_T1_bT2_lS7_S7_lbT3_lS7_S7_lS8_T4_lS7_S7_l.numbered_sgpr, 52
	.set _ZN9rocsolver6v33100L11gemm_kernelI19rocblas_complex_numIdElS3_PS3_PKS4_S4_EEvT0_S7_S7_T1_bT2_lS7_S7_lbT3_lS7_S7_lS8_T4_lS7_S7_l.num_named_barrier, 0
	.set _ZN9rocsolver6v33100L11gemm_kernelI19rocblas_complex_numIdElS3_PS3_PKS4_S4_EEvT0_S7_S7_T1_bT2_lS7_S7_lbT3_lS7_S7_lS8_T4_lS7_S7_l.private_seg_size, 0
	.set _ZN9rocsolver6v33100L11gemm_kernelI19rocblas_complex_numIdElS3_PS3_PKS4_S4_EEvT0_S7_S7_T1_bT2_lS7_S7_lbT3_lS7_S7_lS8_T4_lS7_S7_l.uses_vcc, 1
	.set _ZN9rocsolver6v33100L11gemm_kernelI19rocblas_complex_numIdElS3_PS3_PKS4_S4_EEvT0_S7_S7_T1_bT2_lS7_S7_lbT3_lS7_S7_lS8_T4_lS7_S7_l.uses_flat_scratch, 0
	.set _ZN9rocsolver6v33100L11gemm_kernelI19rocblas_complex_numIdElS3_PS3_PKS4_S4_EEvT0_S7_S7_T1_bT2_lS7_S7_lbT3_lS7_S7_lS8_T4_lS7_S7_l.has_dyn_sized_stack, 0
	.set _ZN9rocsolver6v33100L11gemm_kernelI19rocblas_complex_numIdElS3_PS3_PKS4_S4_EEvT0_S7_S7_T1_bT2_lS7_S7_lbT3_lS7_S7_lS8_T4_lS7_S7_l.has_recursion, 0
	.set _ZN9rocsolver6v33100L11gemm_kernelI19rocblas_complex_numIdElS3_PS3_PKS4_S4_EEvT0_S7_S7_T1_bT2_lS7_S7_lbT3_lS7_S7_lS8_T4_lS7_S7_l.has_indirect_call, 0
	.section	.AMDGPU.csdata,"",@progbits
; Kernel info:
; codeLenInByte = 864
; TotalNumSgprs: 56
; NumVgprs: 24
; ScratchSize: 0
; MemoryBound: 0
; FloatMode: 240
; IeeeMode: 1
; LDSByteSize: 0 bytes/workgroup (compile time only)
; SGPRBlocks: 6
; VGPRBlocks: 5
; NumSGPRsForWavesPerEU: 56
; NumVGPRsForWavesPerEU: 24
; Occupancy: 10
; WaveLimiterHint : 0
; COMPUTE_PGM_RSRC2:SCRATCH_EN: 0
; COMPUTE_PGM_RSRC2:USER_SGPR: 6
; COMPUTE_PGM_RSRC2:TRAP_HANDLER: 0
; COMPUTE_PGM_RSRC2:TGID_X_EN: 1
; COMPUTE_PGM_RSRC2:TGID_Y_EN: 1
; COMPUTE_PGM_RSRC2:TGID_Z_EN: 1
; COMPUTE_PGM_RSRC2:TIDIG_COMP_CNT: 1
	.section	.text._ZN9rocsolver6v33100L16mfma_gemm_kernelI19rocblas_complex_numIdElPKS3_PS3_S6_PKS6_EEv18rocblas_operation_S9_T0_SA_SA_T1_T2_lSA_SA_lT3_lSA_SA_lSB_T4_lSA_SA_l,"axG",@progbits,_ZN9rocsolver6v33100L16mfma_gemm_kernelI19rocblas_complex_numIdElPKS3_PS3_S6_PKS6_EEv18rocblas_operation_S9_T0_SA_SA_T1_T2_lSA_SA_lT3_lSA_SA_lSB_T4_lSA_SA_l,comdat
	.globl	_ZN9rocsolver6v33100L16mfma_gemm_kernelI19rocblas_complex_numIdElPKS3_PS3_S6_PKS6_EEv18rocblas_operation_S9_T0_SA_SA_T1_T2_lSA_SA_lT3_lSA_SA_lSB_T4_lSA_SA_l ; -- Begin function _ZN9rocsolver6v33100L16mfma_gemm_kernelI19rocblas_complex_numIdElPKS3_PS3_S6_PKS6_EEv18rocblas_operation_S9_T0_SA_SA_T1_T2_lSA_SA_lT3_lSA_SA_lSB_T4_lSA_SA_l
	.p2align	8
	.type	_ZN9rocsolver6v33100L16mfma_gemm_kernelI19rocblas_complex_numIdElPKS3_PS3_S6_PKS6_EEv18rocblas_operation_S9_T0_SA_SA_T1_T2_lSA_SA_lT3_lSA_SA_lSB_T4_lSA_SA_l,@function
_ZN9rocsolver6v33100L16mfma_gemm_kernelI19rocblas_complex_numIdElPKS3_PS3_S6_PKS6_EEv18rocblas_operation_S9_T0_SA_SA_T1_T2_lSA_SA_lT3_lSA_SA_lSB_T4_lSA_SA_l: ; @_ZN9rocsolver6v33100L16mfma_gemm_kernelI19rocblas_complex_numIdElPKS3_PS3_S6_PKS6_EEv18rocblas_operation_S9_T0_SA_SA_T1_T2_lSA_SA_lT3_lSA_SA_lSB_T4_lSA_SA_l
; %bb.0:
	s_endpgm
	.section	.rodata,"a",@progbits
	.p2align	6, 0x0
	.amdhsa_kernel _ZN9rocsolver6v33100L16mfma_gemm_kernelI19rocblas_complex_numIdElPKS3_PS3_S6_PKS6_EEv18rocblas_operation_S9_T0_SA_SA_T1_T2_lSA_SA_lT3_lSA_SA_lSB_T4_lSA_SA_l
		.amdhsa_group_segment_fixed_size 0
		.amdhsa_private_segment_fixed_size 0
		.amdhsa_kernarg_size 168
		.amdhsa_user_sgpr_count 6
		.amdhsa_user_sgpr_private_segment_buffer 1
		.amdhsa_user_sgpr_dispatch_ptr 0
		.amdhsa_user_sgpr_queue_ptr 0
		.amdhsa_user_sgpr_kernarg_segment_ptr 1
		.amdhsa_user_sgpr_dispatch_id 0
		.amdhsa_user_sgpr_flat_scratch_init 0
		.amdhsa_user_sgpr_private_segment_size 0
		.amdhsa_uses_dynamic_stack 0
		.amdhsa_system_sgpr_private_segment_wavefront_offset 0
		.amdhsa_system_sgpr_workgroup_id_x 1
		.amdhsa_system_sgpr_workgroup_id_y 0
		.amdhsa_system_sgpr_workgroup_id_z 0
		.amdhsa_system_sgpr_workgroup_info 0
		.amdhsa_system_vgpr_workitem_id 0
		.amdhsa_next_free_vgpr 1
		.amdhsa_next_free_sgpr 0
		.amdhsa_reserve_vcc 0
		.amdhsa_reserve_flat_scratch 0
		.amdhsa_float_round_mode_32 0
		.amdhsa_float_round_mode_16_64 0
		.amdhsa_float_denorm_mode_32 3
		.amdhsa_float_denorm_mode_16_64 3
		.amdhsa_dx10_clamp 1
		.amdhsa_ieee_mode 1
		.amdhsa_fp16_overflow 0
		.amdhsa_exception_fp_ieee_invalid_op 0
		.amdhsa_exception_fp_denorm_src 0
		.amdhsa_exception_fp_ieee_div_zero 0
		.amdhsa_exception_fp_ieee_overflow 0
		.amdhsa_exception_fp_ieee_underflow 0
		.amdhsa_exception_fp_ieee_inexact 0
		.amdhsa_exception_int_div_zero 0
	.end_amdhsa_kernel
	.section	.text._ZN9rocsolver6v33100L16mfma_gemm_kernelI19rocblas_complex_numIdElPKS3_PS3_S6_PKS6_EEv18rocblas_operation_S9_T0_SA_SA_T1_T2_lSA_SA_lT3_lSA_SA_lSB_T4_lSA_SA_l,"axG",@progbits,_ZN9rocsolver6v33100L16mfma_gemm_kernelI19rocblas_complex_numIdElPKS3_PS3_S6_PKS6_EEv18rocblas_operation_S9_T0_SA_SA_T1_T2_lSA_SA_lT3_lSA_SA_lSB_T4_lSA_SA_l,comdat
.Lfunc_end62:
	.size	_ZN9rocsolver6v33100L16mfma_gemm_kernelI19rocblas_complex_numIdElPKS3_PS3_S6_PKS6_EEv18rocblas_operation_S9_T0_SA_SA_T1_T2_lSA_SA_lT3_lSA_SA_lSB_T4_lSA_SA_l, .Lfunc_end62-_ZN9rocsolver6v33100L16mfma_gemm_kernelI19rocblas_complex_numIdElPKS3_PS3_S6_PKS6_EEv18rocblas_operation_S9_T0_SA_SA_T1_T2_lSA_SA_lT3_lSA_SA_lSB_T4_lSA_SA_l
                                        ; -- End function
	.set _ZN9rocsolver6v33100L16mfma_gemm_kernelI19rocblas_complex_numIdElPKS3_PS3_S6_PKS6_EEv18rocblas_operation_S9_T0_SA_SA_T1_T2_lSA_SA_lT3_lSA_SA_lSB_T4_lSA_SA_l.num_vgpr, 0
	.set _ZN9rocsolver6v33100L16mfma_gemm_kernelI19rocblas_complex_numIdElPKS3_PS3_S6_PKS6_EEv18rocblas_operation_S9_T0_SA_SA_T1_T2_lSA_SA_lT3_lSA_SA_lSB_T4_lSA_SA_l.num_agpr, 0
	.set _ZN9rocsolver6v33100L16mfma_gemm_kernelI19rocblas_complex_numIdElPKS3_PS3_S6_PKS6_EEv18rocblas_operation_S9_T0_SA_SA_T1_T2_lSA_SA_lT3_lSA_SA_lSB_T4_lSA_SA_l.numbered_sgpr, 0
	.set _ZN9rocsolver6v33100L16mfma_gemm_kernelI19rocblas_complex_numIdElPKS3_PS3_S6_PKS6_EEv18rocblas_operation_S9_T0_SA_SA_T1_T2_lSA_SA_lT3_lSA_SA_lSB_T4_lSA_SA_l.num_named_barrier, 0
	.set _ZN9rocsolver6v33100L16mfma_gemm_kernelI19rocblas_complex_numIdElPKS3_PS3_S6_PKS6_EEv18rocblas_operation_S9_T0_SA_SA_T1_T2_lSA_SA_lT3_lSA_SA_lSB_T4_lSA_SA_l.private_seg_size, 0
	.set _ZN9rocsolver6v33100L16mfma_gemm_kernelI19rocblas_complex_numIdElPKS3_PS3_S6_PKS6_EEv18rocblas_operation_S9_T0_SA_SA_T1_T2_lSA_SA_lT3_lSA_SA_lSB_T4_lSA_SA_l.uses_vcc, 0
	.set _ZN9rocsolver6v33100L16mfma_gemm_kernelI19rocblas_complex_numIdElPKS3_PS3_S6_PKS6_EEv18rocblas_operation_S9_T0_SA_SA_T1_T2_lSA_SA_lT3_lSA_SA_lSB_T4_lSA_SA_l.uses_flat_scratch, 0
	.set _ZN9rocsolver6v33100L16mfma_gemm_kernelI19rocblas_complex_numIdElPKS3_PS3_S6_PKS6_EEv18rocblas_operation_S9_T0_SA_SA_T1_T2_lSA_SA_lT3_lSA_SA_lSB_T4_lSA_SA_l.has_dyn_sized_stack, 0
	.set _ZN9rocsolver6v33100L16mfma_gemm_kernelI19rocblas_complex_numIdElPKS3_PS3_S6_PKS6_EEv18rocblas_operation_S9_T0_SA_SA_T1_T2_lSA_SA_lT3_lSA_SA_lSB_T4_lSA_SA_l.has_recursion, 0
	.set _ZN9rocsolver6v33100L16mfma_gemm_kernelI19rocblas_complex_numIdElPKS3_PS3_S6_PKS6_EEv18rocblas_operation_S9_T0_SA_SA_T1_T2_lSA_SA_lT3_lSA_SA_lSB_T4_lSA_SA_l.has_indirect_call, 0
	.section	.AMDGPU.csdata,"",@progbits
; Kernel info:
; codeLenInByte = 4
; TotalNumSgprs: 4
; NumVgprs: 0
; ScratchSize: 0
; MemoryBound: 0
; FloatMode: 240
; IeeeMode: 1
; LDSByteSize: 0 bytes/workgroup (compile time only)
; SGPRBlocks: 0
; VGPRBlocks: 0
; NumSGPRsForWavesPerEU: 4
; NumVGPRsForWavesPerEU: 1
; Occupancy: 10
; WaveLimiterHint : 0
; COMPUTE_PGM_RSRC2:SCRATCH_EN: 0
; COMPUTE_PGM_RSRC2:USER_SGPR: 6
; COMPUTE_PGM_RSRC2:TRAP_HANDLER: 0
; COMPUTE_PGM_RSRC2:TGID_X_EN: 1
; COMPUTE_PGM_RSRC2:TGID_Y_EN: 0
; COMPUTE_PGM_RSRC2:TGID_Z_EN: 0
; COMPUTE_PGM_RSRC2:TIDIG_COMP_CNT: 0
	.section	.text._ZN9rocsolver6v33100L16mfma_gemm_kernelI19rocblas_complex_numIdElS3_PS3_S4_PKS4_EEv18rocblas_operation_S7_T0_S8_S8_T1_T2_lS8_S8_lT3_lS8_S8_lS9_T4_lS8_S8_l,"axG",@progbits,_ZN9rocsolver6v33100L16mfma_gemm_kernelI19rocblas_complex_numIdElS3_PS3_S4_PKS4_EEv18rocblas_operation_S7_T0_S8_S8_T1_T2_lS8_S8_lT3_lS8_S8_lS9_T4_lS8_S8_l,comdat
	.globl	_ZN9rocsolver6v33100L16mfma_gemm_kernelI19rocblas_complex_numIdElS3_PS3_S4_PKS4_EEv18rocblas_operation_S7_T0_S8_S8_T1_T2_lS8_S8_lT3_lS8_S8_lS9_T4_lS8_S8_l ; -- Begin function _ZN9rocsolver6v33100L16mfma_gemm_kernelI19rocblas_complex_numIdElS3_PS3_S4_PKS4_EEv18rocblas_operation_S7_T0_S8_S8_T1_T2_lS8_S8_lT3_lS8_S8_lS9_T4_lS8_S8_l
	.p2align	8
	.type	_ZN9rocsolver6v33100L16mfma_gemm_kernelI19rocblas_complex_numIdElS3_PS3_S4_PKS4_EEv18rocblas_operation_S7_T0_S8_S8_T1_T2_lS8_S8_lT3_lS8_S8_lS9_T4_lS8_S8_l,@function
_ZN9rocsolver6v33100L16mfma_gemm_kernelI19rocblas_complex_numIdElS3_PS3_S4_PKS4_EEv18rocblas_operation_S7_T0_S8_S8_T1_T2_lS8_S8_lT3_lS8_S8_lS9_T4_lS8_S8_l: ; @_ZN9rocsolver6v33100L16mfma_gemm_kernelI19rocblas_complex_numIdElS3_PS3_S4_PKS4_EEv18rocblas_operation_S7_T0_S8_S8_T1_T2_lS8_S8_lT3_lS8_S8_lS9_T4_lS8_S8_l
; %bb.0:
	s_endpgm
	.section	.rodata,"a",@progbits
	.p2align	6, 0x0
	.amdhsa_kernel _ZN9rocsolver6v33100L16mfma_gemm_kernelI19rocblas_complex_numIdElS3_PS3_S4_PKS4_EEv18rocblas_operation_S7_T0_S8_S8_T1_T2_lS8_S8_lT3_lS8_S8_lS9_T4_lS8_S8_l
		.amdhsa_group_segment_fixed_size 0
		.amdhsa_private_segment_fixed_size 0
		.amdhsa_kernarg_size 184
		.amdhsa_user_sgpr_count 6
		.amdhsa_user_sgpr_private_segment_buffer 1
		.amdhsa_user_sgpr_dispatch_ptr 0
		.amdhsa_user_sgpr_queue_ptr 0
		.amdhsa_user_sgpr_kernarg_segment_ptr 1
		.amdhsa_user_sgpr_dispatch_id 0
		.amdhsa_user_sgpr_flat_scratch_init 0
		.amdhsa_user_sgpr_private_segment_size 0
		.amdhsa_uses_dynamic_stack 0
		.amdhsa_system_sgpr_private_segment_wavefront_offset 0
		.amdhsa_system_sgpr_workgroup_id_x 1
		.amdhsa_system_sgpr_workgroup_id_y 0
		.amdhsa_system_sgpr_workgroup_id_z 0
		.amdhsa_system_sgpr_workgroup_info 0
		.amdhsa_system_vgpr_workitem_id 0
		.amdhsa_next_free_vgpr 1
		.amdhsa_next_free_sgpr 0
		.amdhsa_reserve_vcc 0
		.amdhsa_reserve_flat_scratch 0
		.amdhsa_float_round_mode_32 0
		.amdhsa_float_round_mode_16_64 0
		.amdhsa_float_denorm_mode_32 3
		.amdhsa_float_denorm_mode_16_64 3
		.amdhsa_dx10_clamp 1
		.amdhsa_ieee_mode 1
		.amdhsa_fp16_overflow 0
		.amdhsa_exception_fp_ieee_invalid_op 0
		.amdhsa_exception_fp_denorm_src 0
		.amdhsa_exception_fp_ieee_div_zero 0
		.amdhsa_exception_fp_ieee_overflow 0
		.amdhsa_exception_fp_ieee_underflow 0
		.amdhsa_exception_fp_ieee_inexact 0
		.amdhsa_exception_int_div_zero 0
	.end_amdhsa_kernel
	.section	.text._ZN9rocsolver6v33100L16mfma_gemm_kernelI19rocblas_complex_numIdElS3_PS3_S4_PKS4_EEv18rocblas_operation_S7_T0_S8_S8_T1_T2_lS8_S8_lT3_lS8_S8_lS9_T4_lS8_S8_l,"axG",@progbits,_ZN9rocsolver6v33100L16mfma_gemm_kernelI19rocblas_complex_numIdElS3_PS3_S4_PKS4_EEv18rocblas_operation_S7_T0_S8_S8_T1_T2_lS8_S8_lT3_lS8_S8_lS9_T4_lS8_S8_l,comdat
.Lfunc_end63:
	.size	_ZN9rocsolver6v33100L16mfma_gemm_kernelI19rocblas_complex_numIdElS3_PS3_S4_PKS4_EEv18rocblas_operation_S7_T0_S8_S8_T1_T2_lS8_S8_lT3_lS8_S8_lS9_T4_lS8_S8_l, .Lfunc_end63-_ZN9rocsolver6v33100L16mfma_gemm_kernelI19rocblas_complex_numIdElS3_PS3_S4_PKS4_EEv18rocblas_operation_S7_T0_S8_S8_T1_T2_lS8_S8_lT3_lS8_S8_lS9_T4_lS8_S8_l
                                        ; -- End function
	.set _ZN9rocsolver6v33100L16mfma_gemm_kernelI19rocblas_complex_numIdElS3_PS3_S4_PKS4_EEv18rocblas_operation_S7_T0_S8_S8_T1_T2_lS8_S8_lT3_lS8_S8_lS9_T4_lS8_S8_l.num_vgpr, 0
	.set _ZN9rocsolver6v33100L16mfma_gemm_kernelI19rocblas_complex_numIdElS3_PS3_S4_PKS4_EEv18rocblas_operation_S7_T0_S8_S8_T1_T2_lS8_S8_lT3_lS8_S8_lS9_T4_lS8_S8_l.num_agpr, 0
	.set _ZN9rocsolver6v33100L16mfma_gemm_kernelI19rocblas_complex_numIdElS3_PS3_S4_PKS4_EEv18rocblas_operation_S7_T0_S8_S8_T1_T2_lS8_S8_lT3_lS8_S8_lS9_T4_lS8_S8_l.numbered_sgpr, 0
	.set _ZN9rocsolver6v33100L16mfma_gemm_kernelI19rocblas_complex_numIdElS3_PS3_S4_PKS4_EEv18rocblas_operation_S7_T0_S8_S8_T1_T2_lS8_S8_lT3_lS8_S8_lS9_T4_lS8_S8_l.num_named_barrier, 0
	.set _ZN9rocsolver6v33100L16mfma_gemm_kernelI19rocblas_complex_numIdElS3_PS3_S4_PKS4_EEv18rocblas_operation_S7_T0_S8_S8_T1_T2_lS8_S8_lT3_lS8_S8_lS9_T4_lS8_S8_l.private_seg_size, 0
	.set _ZN9rocsolver6v33100L16mfma_gemm_kernelI19rocblas_complex_numIdElS3_PS3_S4_PKS4_EEv18rocblas_operation_S7_T0_S8_S8_T1_T2_lS8_S8_lT3_lS8_S8_lS9_T4_lS8_S8_l.uses_vcc, 0
	.set _ZN9rocsolver6v33100L16mfma_gemm_kernelI19rocblas_complex_numIdElS3_PS3_S4_PKS4_EEv18rocblas_operation_S7_T0_S8_S8_T1_T2_lS8_S8_lT3_lS8_S8_lS9_T4_lS8_S8_l.uses_flat_scratch, 0
	.set _ZN9rocsolver6v33100L16mfma_gemm_kernelI19rocblas_complex_numIdElS3_PS3_S4_PKS4_EEv18rocblas_operation_S7_T0_S8_S8_T1_T2_lS8_S8_lT3_lS8_S8_lS9_T4_lS8_S8_l.has_dyn_sized_stack, 0
	.set _ZN9rocsolver6v33100L16mfma_gemm_kernelI19rocblas_complex_numIdElS3_PS3_S4_PKS4_EEv18rocblas_operation_S7_T0_S8_S8_T1_T2_lS8_S8_lT3_lS8_S8_lS9_T4_lS8_S8_l.has_recursion, 0
	.set _ZN9rocsolver6v33100L16mfma_gemm_kernelI19rocblas_complex_numIdElS3_PS3_S4_PKS4_EEv18rocblas_operation_S7_T0_S8_S8_T1_T2_lS8_S8_lT3_lS8_S8_lS9_T4_lS8_S8_l.has_indirect_call, 0
	.section	.AMDGPU.csdata,"",@progbits
; Kernel info:
; codeLenInByte = 4
; TotalNumSgprs: 4
; NumVgprs: 0
; ScratchSize: 0
; MemoryBound: 0
; FloatMode: 240
; IeeeMode: 1
; LDSByteSize: 0 bytes/workgroup (compile time only)
; SGPRBlocks: 0
; VGPRBlocks: 0
; NumSGPRsForWavesPerEU: 4
; NumVGPRsForWavesPerEU: 1
; Occupancy: 10
; WaveLimiterHint : 0
; COMPUTE_PGM_RSRC2:SCRATCH_EN: 0
; COMPUTE_PGM_RSRC2:USER_SGPR: 6
; COMPUTE_PGM_RSRC2:TRAP_HANDLER: 0
; COMPUTE_PGM_RSRC2:TGID_X_EN: 1
; COMPUTE_PGM_RSRC2:TGID_Y_EN: 0
; COMPUTE_PGM_RSRC2:TGID_Z_EN: 0
; COMPUTE_PGM_RSRC2:TIDIG_COMP_CNT: 0
	.section	.text._ZN9rocsolver6v33100L11gemm_kernelI19rocblas_complex_numIdElPKS3_PS3_S6_PKS6_EEvT0_S9_S9_T1_bT2_lS9_S9_lbT3_lS9_S9_lSA_T4_lS9_S9_l,"axG",@progbits,_ZN9rocsolver6v33100L11gemm_kernelI19rocblas_complex_numIdElPKS3_PS3_S6_PKS6_EEvT0_S9_S9_T1_bT2_lS9_S9_lbT3_lS9_S9_lSA_T4_lS9_S9_l,comdat
	.globl	_ZN9rocsolver6v33100L11gemm_kernelI19rocblas_complex_numIdElPKS3_PS3_S6_PKS6_EEvT0_S9_S9_T1_bT2_lS9_S9_lbT3_lS9_S9_lSA_T4_lS9_S9_l ; -- Begin function _ZN9rocsolver6v33100L11gemm_kernelI19rocblas_complex_numIdElPKS3_PS3_S6_PKS6_EEvT0_S9_S9_T1_bT2_lS9_S9_lbT3_lS9_S9_lSA_T4_lS9_S9_l
	.p2align	8
	.type	_ZN9rocsolver6v33100L11gemm_kernelI19rocblas_complex_numIdElPKS3_PS3_S6_PKS6_EEvT0_S9_S9_T1_bT2_lS9_S9_lbT3_lS9_S9_lSA_T4_lS9_S9_l,@function
_ZN9rocsolver6v33100L11gemm_kernelI19rocblas_complex_numIdElPKS3_PS3_S6_PKS6_EEvT0_S9_S9_T1_bT2_lS9_S9_lbT3_lS9_S9_lSA_T4_lS9_S9_l: ; @_ZN9rocsolver6v33100L11gemm_kernelI19rocblas_complex_numIdElPKS3_PS3_S6_PKS6_EEvT0_S9_S9_T1_bT2_lS9_S9_lbT3_lS9_S9_lSA_T4_lS9_S9_l
; %bb.0:
	s_load_dword s0, s[4:5], 0xbc
	s_load_dwordx8 s[24:31], s[4:5], 0x0
	v_mov_b32_e32 v2, v0
	v_mov_b32_e32 v3, 0
	;; [unrolled: 1-line block ×3, first 2 shown]
	s_waitcnt lgkmcnt(0)
	s_lshr_b32 s2, s0, 16
	s_and_b32 s0, s0, 0xffff
	v_mad_u64_u32 v[4:5], s[0:1], s0, v0, v[2:3]
	v_mov_b32_e32 v2, v3
	v_mov_b32_e32 v0, s7
	v_mad_u64_u32 v[0:1], s[0:1], s2, v0, v[1:2]
	v_cmp_gt_i64_e32 vcc, s[24:25], v[4:5]
	v_cmp_gt_i64_e64 s[0:1], s[26:27], v[0:1]
	s_and_b64 s[0:1], vcc, s[0:1]
	s_and_saveexec_b64 s[2:3], s[0:1]
	s_cbranch_execz .LBB64_6
; %bb.1:
	s_load_dwordx16 s[12:27], s[4:5], 0x58
	s_mov_b32 s9, 0
	s_lshl_b64 s[0:1], s[8:9], 3
	s_waitcnt lgkmcnt(0)
	s_add_u32 s0, s24, s0
	s_addc_u32 s1, s25, s1
	s_load_dwordx2 s[24:25], s[0:1], 0x0
	v_cmp_lt_i64_e64 s[0:1], s[28:29], 1
	s_and_b64 vcc, exec, s[0:1]
	s_cbranch_vccnz .LBB64_4
; %bb.2:
	s_load_dword s0, s[4:5], 0x20
	s_load_dwordx8 s[36:43], s[4:5], 0x28
	s_load_dwordx2 s[2:3], s[4:5], 0x48
	s_load_dword s6, s[4:5], 0x50
	v_mul_lo_u32 v10, s19, v0
	s_waitcnt lgkmcnt(0)
	s_bitcmp1_b32 s0, 0
	v_mul_lo_u32 v6, s41, v4
	v_mul_lo_u32 v7, s40, v5
	v_mad_u64_u32 v[2:3], s[0:1], s40, v4, 0
	s_cselect_b64 vcc, -1, 0
	s_bitcmp1_b32 s6, 0
	s_mul_i32 s3, s3, s8
	s_mul_hi_u32 s6, s2, s8
	s_cselect_b64 s[0:1], -1, 0
	s_add_i32 s3, s6, s3
	s_mul_i32 s2, s2, s8
	s_lshl_b64 s[2:3], s[2:3], 4
	s_lshl_b64 s[6:7], s[38:39], 4
	s_add_u32 s6, s36, s6
	v_add3_u32 v3, v3, v7, v6
	s_addc_u32 s7, s37, s7
	v_lshlrev_b64 v[2:3], 4, v[2:3]
	s_add_u32 s2, s6, s2
	s_addc_u32 s3, s7, s3
	v_mov_b32_e32 v6, s3
	v_add_co_u32_e64 v7, s[2:3], s2, v2
	v_addc_co_u32_e64 v6, s[2:3], v6, v3, s[2:3]
	v_mad_u64_u32 v[2:3], s[2:3], s18, v0, 0
	v_add_co_u32_e64 v8, s[2:3], 8, v7
	v_addc_co_u32_e64 v9, s[2:3], 0, v6, s[2:3]
	v_mul_lo_u32 v11, s18, v1
	s_mul_i32 s2, s21, s8
	s_mul_hi_u32 s3, s20, s8
	s_add_i32 s3, s3, s2
	s_mul_i32 s2, s20, s8
	s_lshl_b64 s[10:11], s[42:43], 4
	s_lshl_b64 s[2:3], s[2:3], 4
	;; [unrolled: 1-line block ×3, first 2 shown]
	s_add_u32 s6, s12, s6
	v_add3_u32 v3, v3, v11, v10
	s_addc_u32 s7, s13, s7
	v_lshlrev_b64 v[2:3], 4, v[2:3]
	s_add_u32 s2, s6, s2
	s_addc_u32 s3, s7, s3
	v_mov_b32_e32 v6, s3
	v_add_co_u32_e64 v2, s[2:3], s2, v2
	v_addc_co_u32_e64 v3, s[2:3], v6, v3, s[2:3]
	v_add_co_u32_e64 v10, s[2:3], 8, v2
	v_addc_co_u32_e64 v11, s[2:3], 0, v3, s[2:3]
	s_lshl_b64 s[8:9], s[16:17], 4
	v_mov_b32_e32 v2, 0
	v_mov_b32_e32 v6, 0
	;; [unrolled: 1-line block ×6, first 2 shown]
.LBB64_3:                               ; =>This Inner Loop Header: Depth=1
	global_load_dwordx4 v[14:17], v[8:9], off offset:-8
	global_load_dwordx4 v[18:21], v[10:11], off offset:-8
	s_add_u32 s28, s28, -1
	v_add_co_u32_e64 v10, s[2:3], s8, v10
	v_add_co_u32_e64 v8, s[6:7], s10, v8
	s_addc_u32 s29, s29, -1
	v_addc_co_u32_e64 v9, s[6:7], v9, v12, s[6:7]
	s_cmp_eq_u64 s[28:29], 0
	v_addc_co_u32_e64 v11, s[2:3], v11, v13, s[2:3]
	s_waitcnt vmcnt(1)
	v_xor_b32_e32 v22, 0x80000000, v17
	s_waitcnt vmcnt(0)
	v_xor_b32_e32 v23, 0x80000000, v21
	v_cndmask_b32_e32 v17, v17, v22, vcc
	v_cndmask_b32_e64 v21, v21, v23, s[0:1]
	v_mul_f64 v[22:23], v[16:17], v[20:21]
	v_mul_f64 v[16:17], v[16:17], v[18:19]
	v_fma_f64 v[18:19], v[14:15], v[18:19], -v[22:23]
	v_fma_f64 v[14:15], v[14:15], v[20:21], v[16:17]
	v_add_f64 v[6:7], v[6:7], v[18:19]
	v_add_f64 v[2:3], v[2:3], v[14:15]
	s_cbranch_scc0 .LBB64_3
	s_branch .LBB64_5
.LBB64_4:
	v_mov_b32_e32 v2, 0
	v_mov_b32_e32 v6, 0
	;; [unrolled: 1-line block ×4, first 2 shown]
.LBB64_5:
	s_load_dwordx4 s[8:11], s[30:31], 0x0
	s_load_dwordx4 s[0:3], s[22:23], 0x0
                                        ; kill: killed $sgpr30_sgpr31
                                        ; kill: killed $sgpr22_sgpr23
	s_load_dwordx4 s[12:15], s[4:5], 0x98
	s_lshl_b64 s[4:5], s[26:27], 4
	s_waitcnt lgkmcnt(0)
	s_add_u32 s4, s24, s4
	s_addc_u32 s5, s25, s5
	v_mul_lo_u32 v8, v5, s12
	v_mul_lo_u32 v9, v4, s13
	v_mad_u64_u32 v[4:5], s[6:7], v4, s12, 0
	v_mul_lo_u32 v10, v1, s14
	v_mul_lo_u32 v11, v0, s15
	v_mad_u64_u32 v[0:1], s[6:7], v0, s14, 0
	v_add3_u32 v5, v5, v9, v8
	v_lshlrev_b64 v[4:5], 4, v[4:5]
	v_add3_u32 v1, v1, v11, v10
	v_mov_b32_e32 v8, s5
	v_add_co_u32_e32 v4, vcc, s4, v4
	v_lshlrev_b64 v[0:1], 4, v[0:1]
	v_addc_co_u32_e32 v5, vcc, v8, v5, vcc
	v_add_co_u32_e32 v4, vcc, v4, v0
	v_addc_co_u32_e32 v5, vcc, v5, v1, vcc
	flat_load_dwordx4 v[8:11], v[4:5]
	v_mul_f64 v[0:1], s[10:11], v[2:3]
	v_mul_f64 v[2:3], s[8:9], v[2:3]
	v_fma_f64 v[0:1], s[8:9], v[6:7], -v[0:1]
	v_fma_f64 v[2:3], s[10:11], v[6:7], v[2:3]
	s_waitcnt vmcnt(0) lgkmcnt(0)
	v_mul_f64 v[12:13], s[2:3], v[10:11]
	v_mul_f64 v[10:11], s[0:1], v[10:11]
	v_fma_f64 v[6:7], s[0:1], v[8:9], -v[12:13]
	v_fma_f64 v[8:9], s[2:3], v[8:9], v[10:11]
	v_add_f64 v[0:1], v[0:1], v[6:7]
	v_add_f64 v[2:3], v[2:3], v[8:9]
	flat_store_dwordx4 v[4:5], v[0:3]
.LBB64_6:
	s_endpgm
	.section	.rodata,"a",@progbits
	.p2align	6, 0x0
	.amdhsa_kernel _ZN9rocsolver6v33100L11gemm_kernelI19rocblas_complex_numIdElPKS3_PS3_S6_PKS6_EEvT0_S9_S9_T1_bT2_lS9_S9_lbT3_lS9_S9_lSA_T4_lS9_S9_l
		.amdhsa_group_segment_fixed_size 0
		.amdhsa_private_segment_fixed_size 0
		.amdhsa_kernarg_size 432
		.amdhsa_user_sgpr_count 6
		.amdhsa_user_sgpr_private_segment_buffer 1
		.amdhsa_user_sgpr_dispatch_ptr 0
		.amdhsa_user_sgpr_queue_ptr 0
		.amdhsa_user_sgpr_kernarg_segment_ptr 1
		.amdhsa_user_sgpr_dispatch_id 0
		.amdhsa_user_sgpr_flat_scratch_init 0
		.amdhsa_user_sgpr_private_segment_size 0
		.amdhsa_uses_dynamic_stack 0
		.amdhsa_system_sgpr_private_segment_wavefront_offset 0
		.amdhsa_system_sgpr_workgroup_id_x 1
		.amdhsa_system_sgpr_workgroup_id_y 1
		.amdhsa_system_sgpr_workgroup_id_z 1
		.amdhsa_system_sgpr_workgroup_info 0
		.amdhsa_system_vgpr_workitem_id 1
		.amdhsa_next_free_vgpr 24
		.amdhsa_next_free_sgpr 44
		.amdhsa_reserve_vcc 1
		.amdhsa_reserve_flat_scratch 0
		.amdhsa_float_round_mode_32 0
		.amdhsa_float_round_mode_16_64 0
		.amdhsa_float_denorm_mode_32 3
		.amdhsa_float_denorm_mode_16_64 3
		.amdhsa_dx10_clamp 1
		.amdhsa_ieee_mode 1
		.amdhsa_fp16_overflow 0
		.amdhsa_exception_fp_ieee_invalid_op 0
		.amdhsa_exception_fp_denorm_src 0
		.amdhsa_exception_fp_ieee_div_zero 0
		.amdhsa_exception_fp_ieee_overflow 0
		.amdhsa_exception_fp_ieee_underflow 0
		.amdhsa_exception_fp_ieee_inexact 0
		.amdhsa_exception_int_div_zero 0
	.end_amdhsa_kernel
	.section	.text._ZN9rocsolver6v33100L11gemm_kernelI19rocblas_complex_numIdElPKS3_PS3_S6_PKS6_EEvT0_S9_S9_T1_bT2_lS9_S9_lbT3_lS9_S9_lSA_T4_lS9_S9_l,"axG",@progbits,_ZN9rocsolver6v33100L11gemm_kernelI19rocblas_complex_numIdElPKS3_PS3_S6_PKS6_EEvT0_S9_S9_T1_bT2_lS9_S9_lbT3_lS9_S9_lSA_T4_lS9_S9_l,comdat
.Lfunc_end64:
	.size	_ZN9rocsolver6v33100L11gemm_kernelI19rocblas_complex_numIdElPKS3_PS3_S6_PKS6_EEvT0_S9_S9_T1_bT2_lS9_S9_lbT3_lS9_S9_lSA_T4_lS9_S9_l, .Lfunc_end64-_ZN9rocsolver6v33100L11gemm_kernelI19rocblas_complex_numIdElPKS3_PS3_S6_PKS6_EEvT0_S9_S9_T1_bT2_lS9_S9_lbT3_lS9_S9_lSA_T4_lS9_S9_l
                                        ; -- End function
	.set _ZN9rocsolver6v33100L11gemm_kernelI19rocblas_complex_numIdElPKS3_PS3_S6_PKS6_EEvT0_S9_S9_T1_bT2_lS9_S9_lbT3_lS9_S9_lSA_T4_lS9_S9_l.num_vgpr, 24
	.set _ZN9rocsolver6v33100L11gemm_kernelI19rocblas_complex_numIdElPKS3_PS3_S6_PKS6_EEvT0_S9_S9_T1_bT2_lS9_S9_lbT3_lS9_S9_lSA_T4_lS9_S9_l.num_agpr, 0
	.set _ZN9rocsolver6v33100L11gemm_kernelI19rocblas_complex_numIdElPKS3_PS3_S6_PKS6_EEvT0_S9_S9_T1_bT2_lS9_S9_lbT3_lS9_S9_lSA_T4_lS9_S9_l.numbered_sgpr, 44
	.set _ZN9rocsolver6v33100L11gemm_kernelI19rocblas_complex_numIdElPKS3_PS3_S6_PKS6_EEvT0_S9_S9_T1_bT2_lS9_S9_lbT3_lS9_S9_lSA_T4_lS9_S9_l.num_named_barrier, 0
	.set _ZN9rocsolver6v33100L11gemm_kernelI19rocblas_complex_numIdElPKS3_PS3_S6_PKS6_EEvT0_S9_S9_T1_bT2_lS9_S9_lbT3_lS9_S9_lSA_T4_lS9_S9_l.private_seg_size, 0
	.set _ZN9rocsolver6v33100L11gemm_kernelI19rocblas_complex_numIdElPKS3_PS3_S6_PKS6_EEvT0_S9_S9_T1_bT2_lS9_S9_lbT3_lS9_S9_lSA_T4_lS9_S9_l.uses_vcc, 1
	.set _ZN9rocsolver6v33100L11gemm_kernelI19rocblas_complex_numIdElPKS3_PS3_S6_PKS6_EEvT0_S9_S9_T1_bT2_lS9_S9_lbT3_lS9_S9_lSA_T4_lS9_S9_l.uses_flat_scratch, 0
	.set _ZN9rocsolver6v33100L11gemm_kernelI19rocblas_complex_numIdElPKS3_PS3_S6_PKS6_EEvT0_S9_S9_T1_bT2_lS9_S9_lbT3_lS9_S9_lSA_T4_lS9_S9_l.has_dyn_sized_stack, 0
	.set _ZN9rocsolver6v33100L11gemm_kernelI19rocblas_complex_numIdElPKS3_PS3_S6_PKS6_EEvT0_S9_S9_T1_bT2_lS9_S9_lbT3_lS9_S9_lSA_T4_lS9_S9_l.has_recursion, 0
	.set _ZN9rocsolver6v33100L11gemm_kernelI19rocblas_complex_numIdElPKS3_PS3_S6_PKS6_EEvT0_S9_S9_T1_bT2_lS9_S9_lbT3_lS9_S9_lSA_T4_lS9_S9_l.has_indirect_call, 0
	.section	.AMDGPU.csdata,"",@progbits
; Kernel info:
; codeLenInByte = 872
; TotalNumSgprs: 48
; NumVgprs: 24
; ScratchSize: 0
; MemoryBound: 0
; FloatMode: 240
; IeeeMode: 1
; LDSByteSize: 0 bytes/workgroup (compile time only)
; SGPRBlocks: 5
; VGPRBlocks: 5
; NumSGPRsForWavesPerEU: 48
; NumVGPRsForWavesPerEU: 24
; Occupancy: 10
; WaveLimiterHint : 1
; COMPUTE_PGM_RSRC2:SCRATCH_EN: 0
; COMPUTE_PGM_RSRC2:USER_SGPR: 6
; COMPUTE_PGM_RSRC2:TRAP_HANDLER: 0
; COMPUTE_PGM_RSRC2:TGID_X_EN: 1
; COMPUTE_PGM_RSRC2:TGID_Y_EN: 1
; COMPUTE_PGM_RSRC2:TGID_Z_EN: 1
; COMPUTE_PGM_RSRC2:TIDIG_COMP_CNT: 1
	.section	.text._ZN9rocsolver6v33100L11gemm_kernelI19rocblas_complex_numIdElS3_PS3_S4_PKS4_EEvT0_S7_S7_T1_bT2_lS7_S7_lbT3_lS7_S7_lS8_T4_lS7_S7_l,"axG",@progbits,_ZN9rocsolver6v33100L11gemm_kernelI19rocblas_complex_numIdElS3_PS3_S4_PKS4_EEvT0_S7_S7_T1_bT2_lS7_S7_lbT3_lS7_S7_lS8_T4_lS7_S7_l,comdat
	.globl	_ZN9rocsolver6v33100L11gemm_kernelI19rocblas_complex_numIdElS3_PS3_S4_PKS4_EEvT0_S7_S7_T1_bT2_lS7_S7_lbT3_lS7_S7_lS8_T4_lS7_S7_l ; -- Begin function _ZN9rocsolver6v33100L11gemm_kernelI19rocblas_complex_numIdElS3_PS3_S4_PKS4_EEvT0_S7_S7_T1_bT2_lS7_S7_lbT3_lS7_S7_lS8_T4_lS7_S7_l
	.p2align	8
	.type	_ZN9rocsolver6v33100L11gemm_kernelI19rocblas_complex_numIdElS3_PS3_S4_PKS4_EEvT0_S7_S7_T1_bT2_lS7_S7_lbT3_lS7_S7_lS8_T4_lS7_S7_l,@function
_ZN9rocsolver6v33100L11gemm_kernelI19rocblas_complex_numIdElS3_PS3_S4_PKS4_EEvT0_S7_S7_T1_bT2_lS7_S7_lbT3_lS7_S7_lS8_T4_lS7_S7_l: ; @_ZN9rocsolver6v33100L11gemm_kernelI19rocblas_complex_numIdElS3_PS3_S4_PKS4_EEvT0_S7_S7_T1_bT2_lS7_S7_lbT3_lS7_S7_lS8_T4_lS7_S7_l
; %bb.0:
	s_load_dword s0, s[4:5], 0xcc
	s_load_dwordx8 s[24:31], s[4:5], 0x0
	v_mov_b32_e32 v2, v0
	v_mov_b32_e32 v3, 0
	;; [unrolled: 1-line block ×3, first 2 shown]
	s_waitcnt lgkmcnt(0)
	s_lshr_b32 s2, s0, 16
	s_and_b32 s0, s0, 0xffff
	v_mad_u64_u32 v[4:5], s[0:1], s0, v0, v[2:3]
	v_mov_b32_e32 v2, v3
	v_mov_b32_e32 v0, s7
	v_mad_u64_u32 v[0:1], s[0:1], s2, v0, v[1:2]
	v_cmp_gt_i64_e32 vcc, s[24:25], v[4:5]
	v_cmp_gt_i64_e64 s[0:1], s[26:27], v[0:1]
	s_and_b64 s[0:1], vcc, s[0:1]
	s_and_saveexec_b64 s[2:3], s[0:1]
	s_cbranch_execz .LBB65_6
; %bb.1:
	s_load_dwordx16 s[12:27], s[4:5], 0x60
	s_load_dwordx2 s[10:11], s[4:5], 0x20
	s_mov_b32 s9, 0
	s_lshl_b64 s[0:1], s[8:9], 3
	s_waitcnt lgkmcnt(0)
	s_add_u32 s0, s26, s0
	s_addc_u32 s1, s27, s1
	s_load_dwordx2 s[26:27], s[0:1], 0x0
	v_cmp_lt_i64_e64 s[0:1], s[28:29], 1
	s_and_b64 vcc, exec, s[0:1]
	s_cbranch_vccnz .LBB65_4
; %bb.2:
	s_load_dword s0, s[4:5], 0x28
	s_load_dwordx8 s[36:43], s[4:5], 0x30
	s_load_dwordx2 s[2:3], s[4:5], 0x50
	s_load_dword s6, s[4:5], 0x58
	v_mul_lo_u32 v10, s19, v0
	s_waitcnt lgkmcnt(0)
	s_bitcmp1_b32 s0, 0
	v_mul_lo_u32 v6, s41, v4
	v_mul_lo_u32 v7, s40, v5
	v_mad_u64_u32 v[2:3], s[0:1], s40, v4, 0
	s_cselect_b64 vcc, -1, 0
	s_bitcmp1_b32 s6, 0
	s_mul_i32 s3, s3, s8
	s_mul_hi_u32 s6, s2, s8
	s_cselect_b64 s[0:1], -1, 0
	s_add_i32 s3, s6, s3
	s_mul_i32 s2, s2, s8
	s_lshl_b64 s[2:3], s[2:3], 4
	s_lshl_b64 s[6:7], s[38:39], 4
	s_add_u32 s6, s36, s6
	v_add3_u32 v3, v3, v7, v6
	s_addc_u32 s7, s37, s7
	v_lshlrev_b64 v[2:3], 4, v[2:3]
	s_add_u32 s2, s6, s2
	s_addc_u32 s3, s7, s3
	v_mov_b32_e32 v6, s3
	v_add_co_u32_e64 v7, s[2:3], s2, v2
	v_addc_co_u32_e64 v6, s[2:3], v6, v3, s[2:3]
	v_mad_u64_u32 v[2:3], s[2:3], s18, v0, 0
	v_add_co_u32_e64 v8, s[2:3], 8, v7
	v_addc_co_u32_e64 v9, s[2:3], 0, v6, s[2:3]
	v_mul_lo_u32 v11, s18, v1
	s_mul_i32 s2, s21, s8
	s_mul_hi_u32 s3, s20, s8
	s_add_i32 s3, s3, s2
	s_mul_i32 s2, s20, s8
	s_lshl_b64 s[18:19], s[42:43], 4
	s_lshl_b64 s[2:3], s[2:3], 4
	;; [unrolled: 1-line block ×3, first 2 shown]
	s_add_u32 s6, s12, s6
	v_add3_u32 v3, v3, v11, v10
	s_addc_u32 s7, s13, s7
	v_lshlrev_b64 v[2:3], 4, v[2:3]
	s_add_u32 s2, s6, s2
	s_addc_u32 s3, s7, s3
	v_mov_b32_e32 v6, s3
	v_add_co_u32_e64 v2, s[2:3], s2, v2
	v_addc_co_u32_e64 v3, s[2:3], v6, v3, s[2:3]
	v_add_co_u32_e64 v10, s[2:3], 8, v2
	v_addc_co_u32_e64 v11, s[2:3], 0, v3, s[2:3]
	s_lshl_b64 s[8:9], s[16:17], 4
	v_mov_b32_e32 v2, 0
	v_mov_b32_e32 v6, 0
	;; [unrolled: 1-line block ×6, first 2 shown]
.LBB65_3:                               ; =>This Inner Loop Header: Depth=1
	global_load_dwordx4 v[14:17], v[8:9], off offset:-8
	global_load_dwordx4 v[18:21], v[10:11], off offset:-8
	s_add_u32 s28, s28, -1
	v_add_co_u32_e64 v10, s[2:3], s8, v10
	v_add_co_u32_e64 v8, s[6:7], s18, v8
	s_addc_u32 s29, s29, -1
	v_addc_co_u32_e64 v9, s[6:7], v9, v12, s[6:7]
	s_cmp_eq_u64 s[28:29], 0
	v_addc_co_u32_e64 v11, s[2:3], v11, v13, s[2:3]
	s_waitcnt vmcnt(1)
	v_xor_b32_e32 v22, 0x80000000, v17
	s_waitcnt vmcnt(0)
	v_xor_b32_e32 v23, 0x80000000, v21
	v_cndmask_b32_e32 v17, v17, v22, vcc
	v_cndmask_b32_e64 v21, v21, v23, s[0:1]
	v_mul_f64 v[22:23], v[16:17], v[20:21]
	v_mul_f64 v[16:17], v[16:17], v[18:19]
	v_fma_f64 v[18:19], v[14:15], v[18:19], -v[22:23]
	v_fma_f64 v[14:15], v[14:15], v[20:21], v[16:17]
	v_add_f64 v[6:7], v[6:7], v[18:19]
	v_add_f64 v[2:3], v[2:3], v[14:15]
	s_cbranch_scc0 .LBB65_3
	s_branch .LBB65_5
.LBB65_4:
	v_mov_b32_e32 v2, 0
	v_mov_b32_e32 v6, 0
	;; [unrolled: 1-line block ×4, first 2 shown]
.LBB65_5:
	s_load_dwordx4 s[0:3], s[4:5], 0xa0
	s_load_dwordx2 s[6:7], s[4:5], 0xb0
	s_waitcnt lgkmcnt(0)
	v_mul_lo_u32 v8, v5, s2
	v_mul_lo_u32 v9, v4, s3
	v_mad_u64_u32 v[4:5], s[2:3], v4, s2, 0
	v_mul_lo_u32 v10, v1, s6
	v_mul_lo_u32 v11, v0, s7
	v_mad_u64_u32 v[0:1], s[2:3], v0, s6, 0
	s_lshl_b64 s[0:1], s[0:1], 4
	v_add3_u32 v5, v5, v9, v8
	s_add_u32 s0, s26, s0
	v_lshlrev_b64 v[4:5], 4, v[4:5]
	s_addc_u32 s1, s27, s1
	v_add3_u32 v1, v1, v11, v10
	v_mov_b32_e32 v8, s1
	v_add_co_u32_e32 v4, vcc, s0, v4
	v_lshlrev_b64 v[0:1], 4, v[0:1]
	v_addc_co_u32_e32 v5, vcc, v8, v5, vcc
	v_add_co_u32_e32 v4, vcc, v4, v0
	v_addc_co_u32_e32 v5, vcc, v5, v1, vcc
	flat_load_dwordx4 v[8:11], v[4:5]
	v_mul_f64 v[0:1], s[10:11], v[2:3]
	v_mul_f64 v[2:3], s[30:31], v[2:3]
	v_fma_f64 v[0:1], s[30:31], v[6:7], -v[0:1]
	v_fma_f64 v[2:3], s[10:11], v[6:7], v[2:3]
	s_waitcnt vmcnt(0) lgkmcnt(0)
	v_mul_f64 v[12:13], s[24:25], v[10:11]
	v_mul_f64 v[10:11], s[22:23], v[10:11]
	v_fma_f64 v[6:7], s[22:23], v[8:9], -v[12:13]
	v_fma_f64 v[8:9], s[24:25], v[8:9], v[10:11]
	v_add_f64 v[0:1], v[0:1], v[6:7]
	v_add_f64 v[2:3], v[2:3], v[8:9]
	flat_store_dwordx4 v[4:5], v[0:3]
.LBB65_6:
	s_endpgm
	.section	.rodata,"a",@progbits
	.p2align	6, 0x0
	.amdhsa_kernel _ZN9rocsolver6v33100L11gemm_kernelI19rocblas_complex_numIdElS3_PS3_S4_PKS4_EEvT0_S7_S7_T1_bT2_lS7_S7_lbT3_lS7_S7_lS8_T4_lS7_S7_l
		.amdhsa_group_segment_fixed_size 0
		.amdhsa_private_segment_fixed_size 0
		.amdhsa_kernarg_size 448
		.amdhsa_user_sgpr_count 6
		.amdhsa_user_sgpr_private_segment_buffer 1
		.amdhsa_user_sgpr_dispatch_ptr 0
		.amdhsa_user_sgpr_queue_ptr 0
		.amdhsa_user_sgpr_kernarg_segment_ptr 1
		.amdhsa_user_sgpr_dispatch_id 0
		.amdhsa_user_sgpr_flat_scratch_init 0
		.amdhsa_user_sgpr_private_segment_size 0
		.amdhsa_uses_dynamic_stack 0
		.amdhsa_system_sgpr_private_segment_wavefront_offset 0
		.amdhsa_system_sgpr_workgroup_id_x 1
		.amdhsa_system_sgpr_workgroup_id_y 1
		.amdhsa_system_sgpr_workgroup_id_z 1
		.amdhsa_system_sgpr_workgroup_info 0
		.amdhsa_system_vgpr_workitem_id 1
		.amdhsa_next_free_vgpr 24
		.amdhsa_next_free_sgpr 44
		.amdhsa_reserve_vcc 1
		.amdhsa_reserve_flat_scratch 0
		.amdhsa_float_round_mode_32 0
		.amdhsa_float_round_mode_16_64 0
		.amdhsa_float_denorm_mode_32 3
		.amdhsa_float_denorm_mode_16_64 3
		.amdhsa_dx10_clamp 1
		.amdhsa_ieee_mode 1
		.amdhsa_fp16_overflow 0
		.amdhsa_exception_fp_ieee_invalid_op 0
		.amdhsa_exception_fp_denorm_src 0
		.amdhsa_exception_fp_ieee_div_zero 0
		.amdhsa_exception_fp_ieee_overflow 0
		.amdhsa_exception_fp_ieee_underflow 0
		.amdhsa_exception_fp_ieee_inexact 0
		.amdhsa_exception_int_div_zero 0
	.end_amdhsa_kernel
	.section	.text._ZN9rocsolver6v33100L11gemm_kernelI19rocblas_complex_numIdElS3_PS3_S4_PKS4_EEvT0_S7_S7_T1_bT2_lS7_S7_lbT3_lS7_S7_lS8_T4_lS7_S7_l,"axG",@progbits,_ZN9rocsolver6v33100L11gemm_kernelI19rocblas_complex_numIdElS3_PS3_S4_PKS4_EEvT0_S7_S7_T1_bT2_lS7_S7_lbT3_lS7_S7_lS8_T4_lS7_S7_l,comdat
.Lfunc_end65:
	.size	_ZN9rocsolver6v33100L11gemm_kernelI19rocblas_complex_numIdElS3_PS3_S4_PKS4_EEvT0_S7_S7_T1_bT2_lS7_S7_lbT3_lS7_S7_lS8_T4_lS7_S7_l, .Lfunc_end65-_ZN9rocsolver6v33100L11gemm_kernelI19rocblas_complex_numIdElS3_PS3_S4_PKS4_EEvT0_S7_S7_T1_bT2_lS7_S7_lbT3_lS7_S7_lS8_T4_lS7_S7_l
                                        ; -- End function
	.set _ZN9rocsolver6v33100L11gemm_kernelI19rocblas_complex_numIdElS3_PS3_S4_PKS4_EEvT0_S7_S7_T1_bT2_lS7_S7_lbT3_lS7_S7_lS8_T4_lS7_S7_l.num_vgpr, 24
	.set _ZN9rocsolver6v33100L11gemm_kernelI19rocblas_complex_numIdElS3_PS3_S4_PKS4_EEvT0_S7_S7_T1_bT2_lS7_S7_lbT3_lS7_S7_lS8_T4_lS7_S7_l.num_agpr, 0
	.set _ZN9rocsolver6v33100L11gemm_kernelI19rocblas_complex_numIdElS3_PS3_S4_PKS4_EEvT0_S7_S7_T1_bT2_lS7_S7_lbT3_lS7_S7_lS8_T4_lS7_S7_l.numbered_sgpr, 44
	.set _ZN9rocsolver6v33100L11gemm_kernelI19rocblas_complex_numIdElS3_PS3_S4_PKS4_EEvT0_S7_S7_T1_bT2_lS7_S7_lbT3_lS7_S7_lS8_T4_lS7_S7_l.num_named_barrier, 0
	.set _ZN9rocsolver6v33100L11gemm_kernelI19rocblas_complex_numIdElS3_PS3_S4_PKS4_EEvT0_S7_S7_T1_bT2_lS7_S7_lbT3_lS7_S7_lS8_T4_lS7_S7_l.private_seg_size, 0
	.set _ZN9rocsolver6v33100L11gemm_kernelI19rocblas_complex_numIdElS3_PS3_S4_PKS4_EEvT0_S7_S7_T1_bT2_lS7_S7_lbT3_lS7_S7_lS8_T4_lS7_S7_l.uses_vcc, 1
	.set _ZN9rocsolver6v33100L11gemm_kernelI19rocblas_complex_numIdElS3_PS3_S4_PKS4_EEvT0_S7_S7_T1_bT2_lS7_S7_lbT3_lS7_S7_lS8_T4_lS7_S7_l.uses_flat_scratch, 0
	.set _ZN9rocsolver6v33100L11gemm_kernelI19rocblas_complex_numIdElS3_PS3_S4_PKS4_EEvT0_S7_S7_T1_bT2_lS7_S7_lbT3_lS7_S7_lS8_T4_lS7_S7_l.has_dyn_sized_stack, 0
	.set _ZN9rocsolver6v33100L11gemm_kernelI19rocblas_complex_numIdElS3_PS3_S4_PKS4_EEvT0_S7_S7_T1_bT2_lS7_S7_lbT3_lS7_S7_lS8_T4_lS7_S7_l.has_recursion, 0
	.set _ZN9rocsolver6v33100L11gemm_kernelI19rocblas_complex_numIdElS3_PS3_S4_PKS4_EEvT0_S7_S7_T1_bT2_lS7_S7_lbT3_lS7_S7_lS8_T4_lS7_S7_l.has_indirect_call, 0
	.section	.AMDGPU.csdata,"",@progbits
; Kernel info:
; codeLenInByte = 872
; TotalNumSgprs: 48
; NumVgprs: 24
; ScratchSize: 0
; MemoryBound: 0
; FloatMode: 240
; IeeeMode: 1
; LDSByteSize: 0 bytes/workgroup (compile time only)
; SGPRBlocks: 5
; VGPRBlocks: 5
; NumSGPRsForWavesPerEU: 48
; NumVGPRsForWavesPerEU: 24
; Occupancy: 10
; WaveLimiterHint : 1
; COMPUTE_PGM_RSRC2:SCRATCH_EN: 0
; COMPUTE_PGM_RSRC2:USER_SGPR: 6
; COMPUTE_PGM_RSRC2:TRAP_HANDLER: 0
; COMPUTE_PGM_RSRC2:TGID_X_EN: 1
; COMPUTE_PGM_RSRC2:TGID_Y_EN: 1
; COMPUTE_PGM_RSRC2:TGID_Z_EN: 1
; COMPUTE_PGM_RSRC2:TIDIG_COMP_CNT: 1
	.section	.AMDGPU.gpr_maximums,"",@progbits
	.set amdgpu.max_num_vgpr, 0
	.set amdgpu.max_num_agpr, 0
	.set amdgpu.max_num_sgpr, 0
	.section	.AMDGPU.csdata,"",@progbits
	.type	__hip_cuid_60138fcb1ce48647,@object ; @__hip_cuid_60138fcb1ce48647
	.section	.bss,"aw",@nobits
	.globl	__hip_cuid_60138fcb1ce48647
__hip_cuid_60138fcb1ce48647:
	.byte	0                               ; 0x0
	.size	__hip_cuid_60138fcb1ce48647, 1

	.ident	"AMD clang version 22.0.0git (https://github.com/RadeonOpenCompute/llvm-project roc-7.2.4 26084 f58b06dce1f9c15707c5f808fd002e18c2accf7e)"
	.section	".note.GNU-stack","",@progbits
	.addrsig
	.addrsig_sym __hip_cuid_60138fcb1ce48647
	.amdgpu_metadata
---
amdhsa.kernels:
  - .args:
      - .offset:         0
        .size:           4
        .value_kind:     by_value
      - .offset:         4
        .size:           4
        .value_kind:     by_value
      - .offset:         8
        .size:           4
        .value_kind:     by_value
      - .offset:         12
        .size:           4
        .value_kind:     by_value
      - .offset:         16
        .size:           4
        .value_kind:     by_value
      - .address_space:  global
        .offset:         24
        .size:           8
        .value_kind:     global_buffer
      - .address_space:  global
        .offset:         32
        .size:           8
        .value_kind:     global_buffer
      - .offset:         40
        .size:           8
        .value_kind:     by_value
      - .offset:         48
        .size:           4
        .value_kind:     by_value
      - .offset:         52
        .size:           4
        .value_kind:     by_value
      - .offset:         56
        .size:           8
        .value_kind:     by_value
      - .address_space:  global
        .offset:         64
        .size:           8
        .value_kind:     global_buffer
      - .offset:         72
        .size:           8
        .value_kind:     by_value
      - .offset:         80
        .size:           4
        .value_kind:     by_value
      - .offset:         84
        .size:           4
        .value_kind:     by_value
      - .offset:         88
        .size:           8
        .value_kind:     by_value
      - .address_space:  global
        .offset:         96
        .size:           8
        .value_kind:     global_buffer
      - .address_space:  global
        .offset:         104
        .size:           8
        .value_kind:     global_buffer
      - .offset:         112
        .size:           8
        .value_kind:     by_value
      - .offset:         120
        .size:           4
        .value_kind:     by_value
      - .offset:         124
        .size:           4
        .value_kind:     by_value
      - .offset:         128
        .size:           8
        .value_kind:     by_value
    .group_segment_fixed_size: 0
    .kernarg_segment_align: 8
    .kernarg_segment_size: 136
    .language:       OpenCL C
    .language_version:
      - 2
      - 0
    .max_flat_workgroup_size: 1024
    .name:           _ZN9rocsolver6v33100L16mfma_gemm_kernelI19rocblas_complex_numIdEiPKS3_PS3_S6_S6_EEv18rocblas_operation_S7_T0_S8_S8_T1_T2_lS8_S8_lT3_lS8_S8_lS9_T4_lS8_S8_l
    .private_segment_fixed_size: 0
    .sgpr_count:     4
    .sgpr_spill_count: 0
    .symbol:         _ZN9rocsolver6v33100L16mfma_gemm_kernelI19rocblas_complex_numIdEiPKS3_PS3_S6_S6_EEv18rocblas_operation_S7_T0_S8_S8_T1_T2_lS8_S8_lT3_lS8_S8_lS9_T4_lS8_S8_l.kd
    .uniform_work_group_size: 1
    .uses_dynamic_stack: false
    .vgpr_count:     0
    .vgpr_spill_count: 0
    .wavefront_size: 64
  - .args:
      - .offset:         0
        .size:           4
        .value_kind:     by_value
      - .offset:         4
        .size:           4
        .value_kind:     by_value
      - .offset:         8
        .size:           4
        .value_kind:     by_value
      - .offset:         12
        .size:           4
        .value_kind:     by_value
      - .offset:         16
        .size:           4
        .value_kind:     by_value
      - .offset:         24
        .size:           16
        .value_kind:     by_value
      - .address_space:  global
        .offset:         40
        .size:           8
        .value_kind:     global_buffer
      - .offset:         48
        .size:           8
        .value_kind:     by_value
      - .offset:         56
        .size:           4
        .value_kind:     by_value
      - .offset:         60
        .size:           4
        .value_kind:     by_value
      - .offset:         64
        .size:           8
        .value_kind:     by_value
      - .address_space:  global
        .offset:         72
        .size:           8
        .value_kind:     global_buffer
      - .offset:         80
        .size:           8
        .value_kind:     by_value
      - .offset:         88
        .size:           4
        .value_kind:     by_value
      - .offset:         92
        .size:           4
        .value_kind:     by_value
      - .offset:         96
        .size:           8
        .value_kind:     by_value
      - .offset:         104
        .size:           16
        .value_kind:     by_value
      - .address_space:  global
        .offset:         120
        .size:           8
        .value_kind:     global_buffer
      - .offset:         128
        .size:           8
        .value_kind:     by_value
      - .offset:         136
        .size:           4
        .value_kind:     by_value
      - .offset:         140
        .size:           4
        .value_kind:     by_value
      - .offset:         144
        .size:           8
        .value_kind:     by_value
    .group_segment_fixed_size: 0
    .kernarg_segment_align: 8
    .kernarg_segment_size: 152
    .language:       OpenCL C
    .language_version:
      - 2
      - 0
    .max_flat_workgroup_size: 1024
    .name:           _ZN9rocsolver6v33100L16mfma_gemm_kernelI19rocblas_complex_numIdEiS3_PS3_S4_S4_EEv18rocblas_operation_S5_T0_S6_S6_T1_T2_lS6_S6_lT3_lS6_S6_lS7_T4_lS6_S6_l
    .private_segment_fixed_size: 0
    .sgpr_count:     4
    .sgpr_spill_count: 0
    .symbol:         _ZN9rocsolver6v33100L16mfma_gemm_kernelI19rocblas_complex_numIdEiS3_PS3_S4_S4_EEv18rocblas_operation_S5_T0_S6_S6_T1_T2_lS6_S6_lT3_lS6_S6_lS7_T4_lS6_S6_l.kd
    .uniform_work_group_size: 1
    .uses_dynamic_stack: false
    .vgpr_count:     0
    .vgpr_spill_count: 0
    .wavefront_size: 64
  - .args:
      - .offset:         0
        .size:           4
        .value_kind:     by_value
      - .offset:         4
        .size:           4
        .value_kind:     by_value
      - .offset:         8
        .size:           4
        .value_kind:     by_value
      - .address_space:  global
        .offset:         16
        .size:           8
        .value_kind:     global_buffer
      - .offset:         24
        .size:           1
        .value_kind:     by_value
      - .address_space:  global
        .offset:         32
        .size:           8
        .value_kind:     global_buffer
      - .offset:         40
        .size:           8
        .value_kind:     by_value
      - .offset:         48
        .size:           4
        .value_kind:     by_value
      - .offset:         52
        .size:           4
        .value_kind:     by_value
      - .offset:         56
        .size:           8
        .value_kind:     by_value
      - .offset:         64
        .size:           1
        .value_kind:     by_value
      - .address_space:  global
        .offset:         72
        .size:           8
        .value_kind:     global_buffer
      - .offset:         80
        .size:           8
        .value_kind:     by_value
      - .offset:         88
        .size:           4
        .value_kind:     by_value
      - .offset:         92
        .size:           4
        .value_kind:     by_value
      - .offset:         96
        .size:           8
        .value_kind:     by_value
      - .address_space:  global
        .offset:         104
        .size:           8
        .value_kind:     global_buffer
      - .address_space:  global
        .offset:         112
        .size:           8
        .value_kind:     global_buffer
      - .offset:         120
        .size:           8
        .value_kind:     by_value
      - .offset:         128
        .size:           4
        .value_kind:     by_value
      - .offset:         132
        .size:           4
        .value_kind:     by_value
      - .offset:         136
        .size:           8
        .value_kind:     by_value
      - .offset:         144
        .size:           4
        .value_kind:     hidden_block_count_x
      - .offset:         148
        .size:           4
        .value_kind:     hidden_block_count_y
      - .offset:         152
        .size:           4
        .value_kind:     hidden_block_count_z
      - .offset:         156
        .size:           2
        .value_kind:     hidden_group_size_x
      - .offset:         158
        .size:           2
        .value_kind:     hidden_group_size_y
      - .offset:         160
        .size:           2
        .value_kind:     hidden_group_size_z
      - .offset:         162
        .size:           2
        .value_kind:     hidden_remainder_x
      - .offset:         164
        .size:           2
        .value_kind:     hidden_remainder_y
      - .offset:         166
        .size:           2
        .value_kind:     hidden_remainder_z
      - .offset:         184
        .size:           8
        .value_kind:     hidden_global_offset_x
      - .offset:         192
        .size:           8
        .value_kind:     hidden_global_offset_y
      - .offset:         200
        .size:           8
        .value_kind:     hidden_global_offset_z
      - .offset:         208
        .size:           2
        .value_kind:     hidden_grid_dims
    .group_segment_fixed_size: 0
    .kernarg_segment_align: 8
    .kernarg_segment_size: 400
    .language:       OpenCL C
    .language_version:
      - 2
      - 0
    .max_flat_workgroup_size: 1024
    .name:           _ZN9rocsolver6v33100L11gemm_kernelI19rocblas_complex_numIdEiPKS3_PS3_S6_S6_EEvT0_S7_S7_T1_bT2_lS7_S7_lbT3_lS7_S7_lS8_T4_lS7_S7_l
    .private_segment_fixed_size: 0
    .sgpr_count:     44
    .sgpr_spill_count: 0
    .symbol:         _ZN9rocsolver6v33100L11gemm_kernelI19rocblas_complex_numIdEiPKS3_PS3_S6_S6_EEvT0_S7_S7_T1_bT2_lS7_S7_lbT3_lS7_S7_lS8_T4_lS7_S7_l.kd
    .uniform_work_group_size: 1
    .uses_dynamic_stack: false
    .vgpr_count:     22
    .vgpr_spill_count: 0
    .wavefront_size: 64
  - .args:
      - .offset:         0
        .size:           4
        .value_kind:     by_value
      - .offset:         4
        .size:           4
        .value_kind:     by_value
      - .offset:         8
        .size:           4
        .value_kind:     by_value
      - .offset:         16
        .size:           16
        .value_kind:     by_value
      - .offset:         32
        .size:           1
        .value_kind:     by_value
      - .address_space:  global
        .offset:         40
        .size:           8
        .value_kind:     global_buffer
      - .offset:         48
        .size:           8
        .value_kind:     by_value
      - .offset:         56
        .size:           4
        .value_kind:     by_value
      - .offset:         60
        .size:           4
        .value_kind:     by_value
      - .offset:         64
        .size:           8
        .value_kind:     by_value
      - .offset:         72
        .size:           1
        .value_kind:     by_value
      - .address_space:  global
        .offset:         80
        .size:           8
        .value_kind:     global_buffer
      - .offset:         88
        .size:           8
        .value_kind:     by_value
      - .offset:         96
        .size:           4
        .value_kind:     by_value
      - .offset:         100
        .size:           4
        .value_kind:     by_value
      - .offset:         104
        .size:           8
        .value_kind:     by_value
      - .offset:         112
        .size:           16
        .value_kind:     by_value
      - .address_space:  global
        .offset:         128
        .size:           8
        .value_kind:     global_buffer
      - .offset:         136
        .size:           8
        .value_kind:     by_value
      - .offset:         144
        .size:           4
        .value_kind:     by_value
      - .offset:         148
        .size:           4
        .value_kind:     by_value
      - .offset:         152
        .size:           8
        .value_kind:     by_value
      - .offset:         160
        .size:           4
        .value_kind:     hidden_block_count_x
      - .offset:         164
        .size:           4
        .value_kind:     hidden_block_count_y
      - .offset:         168
        .size:           4
        .value_kind:     hidden_block_count_z
      - .offset:         172
        .size:           2
        .value_kind:     hidden_group_size_x
      - .offset:         174
        .size:           2
        .value_kind:     hidden_group_size_y
      - .offset:         176
        .size:           2
        .value_kind:     hidden_group_size_z
      - .offset:         178
        .size:           2
        .value_kind:     hidden_remainder_x
      - .offset:         180
        .size:           2
        .value_kind:     hidden_remainder_y
      - .offset:         182
        .size:           2
        .value_kind:     hidden_remainder_z
      - .offset:         200
        .size:           8
        .value_kind:     hidden_global_offset_x
      - .offset:         208
        .size:           8
        .value_kind:     hidden_global_offset_y
      - .offset:         216
        .size:           8
        .value_kind:     hidden_global_offset_z
      - .offset:         224
        .size:           2
        .value_kind:     hidden_grid_dims
    .group_segment_fixed_size: 0
    .kernarg_segment_align: 8
    .kernarg_segment_size: 416
    .language:       OpenCL C
    .language_version:
      - 2
      - 0
    .max_flat_workgroup_size: 1024
    .name:           _ZN9rocsolver6v33100L11gemm_kernelI19rocblas_complex_numIdEiS3_PS3_S4_S4_EEvT0_S5_S5_T1_bT2_lS5_S5_lbT3_lS5_S5_lS6_T4_lS5_S5_l
    .private_segment_fixed_size: 0
    .sgpr_count:     44
    .sgpr_spill_count: 0
    .symbol:         _ZN9rocsolver6v33100L11gemm_kernelI19rocblas_complex_numIdEiS3_PS3_S4_S4_EEvT0_S5_S5_T1_bT2_lS5_S5_lbT3_lS5_S5_lS6_T4_lS5_S5_l.kd
    .uniform_work_group_size: 1
    .uses_dynamic_stack: false
    .vgpr_count:     22
    .vgpr_spill_count: 0
    .wavefront_size: 64
  - .args:
      - .offset:         0
        .size:           4
        .value_kind:     by_value
      - .offset:         4
        .size:           4
        .value_kind:     by_value
      - .offset:         8
        .size:           4
        .value_kind:     by_value
      - .offset:         12
        .size:           4
        .value_kind:     by_value
      - .offset:         16
        .size:           4
        .value_kind:     by_value
      - .address_space:  global
        .offset:         24
        .size:           8
        .value_kind:     global_buffer
      - .address_space:  global
        .offset:         32
        .size:           8
        .value_kind:     global_buffer
      - .offset:         40
        .size:           8
        .value_kind:     by_value
      - .offset:         48
        .size:           4
        .value_kind:     by_value
      - .offset:         52
        .size:           4
        .value_kind:     by_value
      - .offset:         56
        .size:           8
        .value_kind:     by_value
      - .address_space:  global
        .offset:         64
        .size:           8
        .value_kind:     global_buffer
      - .offset:         72
        .size:           8
        .value_kind:     by_value
      - .offset:         80
        .size:           4
        .value_kind:     by_value
      - .offset:         84
        .size:           4
        .value_kind:     by_value
      - .offset:         88
        .size:           8
        .value_kind:     by_value
      - .address_space:  global
        .offset:         96
        .size:           8
        .value_kind:     global_buffer
      - .address_space:  global
        .offset:         104
        .size:           8
        .value_kind:     global_buffer
      - .offset:         112
        .size:           8
        .value_kind:     by_value
      - .offset:         120
        .size:           4
        .value_kind:     by_value
      - .offset:         124
        .size:           4
        .value_kind:     by_value
      - .offset:         128
        .size:           8
        .value_kind:     by_value
    .group_segment_fixed_size: 0
    .kernarg_segment_align: 8
    .kernarg_segment_size: 136
    .language:       OpenCL C
    .language_version:
      - 2
      - 0
    .max_flat_workgroup_size: 1024
    .name:           _ZN9rocsolver6v33100L16mfma_gemm_kernelI19rocblas_complex_numIdEiPKS3_PKPS3_S8_S8_EEv18rocblas_operation_S9_T0_SA_SA_T1_T2_lSA_SA_lT3_lSA_SA_lSB_T4_lSA_SA_l
    .private_segment_fixed_size: 0
    .sgpr_count:     4
    .sgpr_spill_count: 0
    .symbol:         _ZN9rocsolver6v33100L16mfma_gemm_kernelI19rocblas_complex_numIdEiPKS3_PKPS3_S8_S8_EEv18rocblas_operation_S9_T0_SA_SA_T1_T2_lSA_SA_lT3_lSA_SA_lSB_T4_lSA_SA_l.kd
    .uniform_work_group_size: 1
    .uses_dynamic_stack: false
    .vgpr_count:     0
    .vgpr_spill_count: 0
    .wavefront_size: 64
  - .args:
      - .offset:         0
        .size:           4
        .value_kind:     by_value
      - .offset:         4
        .size:           4
        .value_kind:     by_value
      - .offset:         8
        .size:           4
        .value_kind:     by_value
      - .offset:         12
        .size:           4
        .value_kind:     by_value
      - .offset:         16
        .size:           4
        .value_kind:     by_value
      - .offset:         24
        .size:           16
        .value_kind:     by_value
      - .address_space:  global
        .offset:         40
        .size:           8
        .value_kind:     global_buffer
      - .offset:         48
        .size:           8
        .value_kind:     by_value
      - .offset:         56
        .size:           4
        .value_kind:     by_value
      - .offset:         60
        .size:           4
        .value_kind:     by_value
      - .offset:         64
        .size:           8
        .value_kind:     by_value
      - .address_space:  global
        .offset:         72
        .size:           8
        .value_kind:     global_buffer
      - .offset:         80
        .size:           8
        .value_kind:     by_value
      - .offset:         88
        .size:           4
        .value_kind:     by_value
      - .offset:         92
        .size:           4
        .value_kind:     by_value
      - .offset:         96
        .size:           8
        .value_kind:     by_value
      - .offset:         104
        .size:           16
        .value_kind:     by_value
      - .address_space:  global
        .offset:         120
        .size:           8
        .value_kind:     global_buffer
      - .offset:         128
        .size:           8
        .value_kind:     by_value
      - .offset:         136
        .size:           4
        .value_kind:     by_value
      - .offset:         140
        .size:           4
        .value_kind:     by_value
      - .offset:         144
        .size:           8
        .value_kind:     by_value
    .group_segment_fixed_size: 0
    .kernarg_segment_align: 8
    .kernarg_segment_size: 152
    .language:       OpenCL C
    .language_version:
      - 2
      - 0
    .max_flat_workgroup_size: 1024
    .name:           _ZN9rocsolver6v33100L16mfma_gemm_kernelI19rocblas_complex_numIdEiS3_PKPS3_S6_S6_EEv18rocblas_operation_S7_T0_S8_S8_T1_T2_lS8_S8_lT3_lS8_S8_lS9_T4_lS8_S8_l
    .private_segment_fixed_size: 0
    .sgpr_count:     4
    .sgpr_spill_count: 0
    .symbol:         _ZN9rocsolver6v33100L16mfma_gemm_kernelI19rocblas_complex_numIdEiS3_PKPS3_S6_S6_EEv18rocblas_operation_S7_T0_S8_S8_T1_T2_lS8_S8_lT3_lS8_S8_lS9_T4_lS8_S8_l.kd
    .uniform_work_group_size: 1
    .uses_dynamic_stack: false
    .vgpr_count:     0
    .vgpr_spill_count: 0
    .wavefront_size: 64
  - .args:
      - .offset:         0
        .size:           4
        .value_kind:     by_value
      - .offset:         4
        .size:           4
        .value_kind:     by_value
      - .offset:         8
        .size:           4
        .value_kind:     by_value
      - .address_space:  global
        .offset:         16
        .size:           8
        .value_kind:     global_buffer
      - .offset:         24
        .size:           1
        .value_kind:     by_value
      - .address_space:  global
        .offset:         32
        .size:           8
        .value_kind:     global_buffer
      - .offset:         40
        .size:           8
        .value_kind:     by_value
      - .offset:         48
        .size:           4
        .value_kind:     by_value
      - .offset:         52
        .size:           4
        .value_kind:     by_value
      - .offset:         56
        .size:           8
        .value_kind:     by_value
      - .offset:         64
        .size:           1
        .value_kind:     by_value
      - .address_space:  global
        .offset:         72
        .size:           8
        .value_kind:     global_buffer
      - .offset:         80
        .size:           8
        .value_kind:     by_value
      - .offset:         88
        .size:           4
        .value_kind:     by_value
      - .offset:         92
        .size:           4
        .value_kind:     by_value
      - .offset:         96
        .size:           8
        .value_kind:     by_value
      - .address_space:  global
        .offset:         104
        .size:           8
        .value_kind:     global_buffer
      - .address_space:  global
        .offset:         112
        .size:           8
        .value_kind:     global_buffer
      - .offset:         120
        .size:           8
        .value_kind:     by_value
      - .offset:         128
        .size:           4
        .value_kind:     by_value
      - .offset:         132
        .size:           4
        .value_kind:     by_value
      - .offset:         136
        .size:           8
        .value_kind:     by_value
      - .offset:         144
        .size:           4
        .value_kind:     hidden_block_count_x
      - .offset:         148
        .size:           4
        .value_kind:     hidden_block_count_y
      - .offset:         152
        .size:           4
        .value_kind:     hidden_block_count_z
      - .offset:         156
        .size:           2
        .value_kind:     hidden_group_size_x
      - .offset:         158
        .size:           2
        .value_kind:     hidden_group_size_y
      - .offset:         160
        .size:           2
        .value_kind:     hidden_group_size_z
      - .offset:         162
        .size:           2
        .value_kind:     hidden_remainder_x
      - .offset:         164
        .size:           2
        .value_kind:     hidden_remainder_y
      - .offset:         166
        .size:           2
        .value_kind:     hidden_remainder_z
      - .offset:         184
        .size:           8
        .value_kind:     hidden_global_offset_x
      - .offset:         192
        .size:           8
        .value_kind:     hidden_global_offset_y
      - .offset:         200
        .size:           8
        .value_kind:     hidden_global_offset_z
      - .offset:         208
        .size:           2
        .value_kind:     hidden_grid_dims
    .group_segment_fixed_size: 0
    .kernarg_segment_align: 8
    .kernarg_segment_size: 400
    .language:       OpenCL C
    .language_version:
      - 2
      - 0
    .max_flat_workgroup_size: 1024
    .name:           _ZN9rocsolver6v33100L11gemm_kernelI19rocblas_complex_numIdEiPKS3_PKPS3_S8_S8_EEvT0_S9_S9_T1_bT2_lS9_S9_lbT3_lS9_S9_lSA_T4_lS9_S9_l
    .private_segment_fixed_size: 0
    .sgpr_count:     33
    .sgpr_spill_count: 0
    .symbol:         _ZN9rocsolver6v33100L11gemm_kernelI19rocblas_complex_numIdEiPKS3_PKPS3_S8_S8_EEvT0_S9_S9_T1_bT2_lS9_S9_lbT3_lS9_S9_lSA_T4_lS9_S9_l.kd
    .uniform_work_group_size: 1
    .uses_dynamic_stack: false
    .vgpr_count:     22
    .vgpr_spill_count: 0
    .wavefront_size: 64
  - .args:
      - .offset:         0
        .size:           4
        .value_kind:     by_value
      - .offset:         4
        .size:           4
        .value_kind:     by_value
      - .offset:         8
        .size:           4
        .value_kind:     by_value
      - .offset:         16
        .size:           16
        .value_kind:     by_value
      - .offset:         32
        .size:           1
        .value_kind:     by_value
      - .address_space:  global
        .offset:         40
        .size:           8
        .value_kind:     global_buffer
      - .offset:         48
        .size:           8
        .value_kind:     by_value
      - .offset:         56
        .size:           4
        .value_kind:     by_value
      - .offset:         60
        .size:           4
        .value_kind:     by_value
      - .offset:         64
        .size:           8
        .value_kind:     by_value
      - .offset:         72
        .size:           1
        .value_kind:     by_value
      - .address_space:  global
        .offset:         80
        .size:           8
        .value_kind:     global_buffer
      - .offset:         88
        .size:           8
        .value_kind:     by_value
      - .offset:         96
        .size:           4
        .value_kind:     by_value
      - .offset:         100
        .size:           4
        .value_kind:     by_value
      - .offset:         104
        .size:           8
        .value_kind:     by_value
      - .offset:         112
        .size:           16
        .value_kind:     by_value
      - .address_space:  global
        .offset:         128
        .size:           8
        .value_kind:     global_buffer
      - .offset:         136
        .size:           8
        .value_kind:     by_value
      - .offset:         144
        .size:           4
        .value_kind:     by_value
      - .offset:         148
        .size:           4
        .value_kind:     by_value
      - .offset:         152
        .size:           8
        .value_kind:     by_value
      - .offset:         160
        .size:           4
        .value_kind:     hidden_block_count_x
      - .offset:         164
        .size:           4
        .value_kind:     hidden_block_count_y
      - .offset:         168
        .size:           4
        .value_kind:     hidden_block_count_z
      - .offset:         172
        .size:           2
        .value_kind:     hidden_group_size_x
      - .offset:         174
        .size:           2
        .value_kind:     hidden_group_size_y
      - .offset:         176
        .size:           2
        .value_kind:     hidden_group_size_z
      - .offset:         178
        .size:           2
        .value_kind:     hidden_remainder_x
      - .offset:         180
        .size:           2
        .value_kind:     hidden_remainder_y
      - .offset:         182
        .size:           2
        .value_kind:     hidden_remainder_z
      - .offset:         200
        .size:           8
        .value_kind:     hidden_global_offset_x
      - .offset:         208
        .size:           8
        .value_kind:     hidden_global_offset_y
      - .offset:         216
        .size:           8
        .value_kind:     hidden_global_offset_z
      - .offset:         224
        .size:           2
        .value_kind:     hidden_grid_dims
    .group_segment_fixed_size: 0
    .kernarg_segment_align: 8
    .kernarg_segment_size: 416
    .language:       OpenCL C
    .language_version:
      - 2
      - 0
    .max_flat_workgroup_size: 1024
    .name:           _ZN9rocsolver6v33100L11gemm_kernelI19rocblas_complex_numIdEiS3_PKPS3_S6_S6_EEvT0_S7_S7_T1_bT2_lS7_S7_lbT3_lS7_S7_lS8_T4_lS7_S7_l
    .private_segment_fixed_size: 0
    .sgpr_count:     33
    .sgpr_spill_count: 0
    .symbol:         _ZN9rocsolver6v33100L11gemm_kernelI19rocblas_complex_numIdEiS3_PKPS3_S6_S6_EEvT0_S7_S7_T1_bT2_lS7_S7_lbT3_lS7_S7_lS8_T4_lS7_S7_l.kd
    .uniform_work_group_size: 1
    .uses_dynamic_stack: false
    .vgpr_count:     22
    .vgpr_spill_count: 0
    .wavefront_size: 64
  - .args:
      - .address_space:  global
        .offset:         0
        .size:           8
        .value_kind:     global_buffer
      - .address_space:  global
        .offset:         8
        .size:           8
        .value_kind:     global_buffer
      - .offset:         16
        .size:           8
        .value_kind:     by_value
      - .offset:         24
        .size:           4
        .value_kind:     by_value
      - .offset:         32
        .size:           4
        .value_kind:     hidden_block_count_x
      - .offset:         36
        .size:           4
        .value_kind:     hidden_block_count_y
      - .offset:         40
        .size:           4
        .value_kind:     hidden_block_count_z
      - .offset:         44
        .size:           2
        .value_kind:     hidden_group_size_x
      - .offset:         46
        .size:           2
        .value_kind:     hidden_group_size_y
      - .offset:         48
        .size:           2
        .value_kind:     hidden_group_size_z
      - .offset:         50
        .size:           2
        .value_kind:     hidden_remainder_x
      - .offset:         52
        .size:           2
        .value_kind:     hidden_remainder_y
      - .offset:         54
        .size:           2
        .value_kind:     hidden_remainder_z
      - .offset:         72
        .size:           8
        .value_kind:     hidden_global_offset_x
      - .offset:         80
        .size:           8
        .value_kind:     hidden_global_offset_y
      - .offset:         88
        .size:           8
        .value_kind:     hidden_global_offset_z
      - .offset:         96
        .size:           2
        .value_kind:     hidden_grid_dims
    .group_segment_fixed_size: 0
    .kernarg_segment_align: 8
    .kernarg_segment_size: 288
    .language:       OpenCL C
    .language_version:
      - 2
      - 0
    .max_flat_workgroup_size: 1024
    .name:           _ZN9rocsolver6v33100L9get_arrayI19rocblas_complex_numIdEiEEvPPT_S5_lT0_
    .private_segment_fixed_size: 0
    .sgpr_count:     12
    .sgpr_spill_count: 0
    .symbol:         _ZN9rocsolver6v33100L9get_arrayI19rocblas_complex_numIdEiEEvPPT_S5_lT0_.kd
    .uniform_work_group_size: 1
    .uses_dynamic_stack: false
    .vgpr_count:     7
    .vgpr_spill_count: 0
    .wavefront_size: 64
  - .args:
      - .offset:         0
        .size:           4
        .value_kind:     by_value
      - .offset:         4
        .size:           4
        .value_kind:     by_value
      - .offset:         8
        .size:           4
        .value_kind:     by_value
      - .offset:         12
        .size:           4
        .value_kind:     by_value
      - .offset:         16
        .size:           4
        .value_kind:     by_value
      - .address_space:  global
        .offset:         24
        .size:           8
        .value_kind:     global_buffer
      - .address_space:  global
        .offset:         32
        .size:           8
        .value_kind:     global_buffer
      - .offset:         40
        .size:           8
        .value_kind:     by_value
      - .offset:         48
        .size:           4
        .value_kind:     by_value
      - .offset:         52
        .size:           4
        .value_kind:     by_value
      - .offset:         56
        .size:           8
        .value_kind:     by_value
      - .address_space:  global
        .offset:         64
        .size:           8
        .value_kind:     global_buffer
      - .offset:         72
        .size:           8
        .value_kind:     by_value
      - .offset:         80
        .size:           4
        .value_kind:     by_value
      - .offset:         84
        .size:           4
        .value_kind:     by_value
      - .offset:         88
        .size:           8
        .value_kind:     by_value
      - .address_space:  global
        .offset:         96
        .size:           8
        .value_kind:     global_buffer
      - .address_space:  global
        .offset:         104
        .size:           8
        .value_kind:     global_buffer
      - .offset:         112
        .size:           8
        .value_kind:     by_value
      - .offset:         120
        .size:           4
        .value_kind:     by_value
      - .offset:         124
        .size:           4
        .value_kind:     by_value
      - .offset:         128
        .size:           8
        .value_kind:     by_value
    .group_segment_fixed_size: 0
    .kernarg_segment_align: 8
    .kernarg_segment_size: 136
    .language:       OpenCL C
    .language_version:
      - 2
      - 0
    .max_flat_workgroup_size: 1024
    .name:           _ZN9rocsolver6v33100L16mfma_gemm_kernelI19rocblas_complex_numIdEiPKS3_PS3_PKS6_S8_EEv18rocblas_operation_S9_T0_SA_SA_T1_T2_lSA_SA_lT3_lSA_SA_lSB_T4_lSA_SA_l
    .private_segment_fixed_size: 0
    .sgpr_count:     4
    .sgpr_spill_count: 0
    .symbol:         _ZN9rocsolver6v33100L16mfma_gemm_kernelI19rocblas_complex_numIdEiPKS3_PS3_PKS6_S8_EEv18rocblas_operation_S9_T0_SA_SA_T1_T2_lSA_SA_lT3_lSA_SA_lSB_T4_lSA_SA_l.kd
    .uniform_work_group_size: 1
    .uses_dynamic_stack: false
    .vgpr_count:     0
    .vgpr_spill_count: 0
    .wavefront_size: 64
  - .args:
      - .offset:         0
        .size:           4
        .value_kind:     by_value
      - .offset:         4
        .size:           4
        .value_kind:     by_value
      - .offset:         8
        .size:           4
        .value_kind:     by_value
      - .offset:         12
        .size:           4
        .value_kind:     by_value
      - .offset:         16
        .size:           4
        .value_kind:     by_value
      - .offset:         24
        .size:           16
        .value_kind:     by_value
      - .address_space:  global
        .offset:         40
        .size:           8
        .value_kind:     global_buffer
      - .offset:         48
        .size:           8
        .value_kind:     by_value
      - .offset:         56
        .size:           4
        .value_kind:     by_value
      - .offset:         60
        .size:           4
        .value_kind:     by_value
      - .offset:         64
        .size:           8
        .value_kind:     by_value
      - .address_space:  global
        .offset:         72
        .size:           8
        .value_kind:     global_buffer
      - .offset:         80
        .size:           8
        .value_kind:     by_value
      - .offset:         88
        .size:           4
        .value_kind:     by_value
      - .offset:         92
        .size:           4
        .value_kind:     by_value
      - .offset:         96
        .size:           8
        .value_kind:     by_value
      - .offset:         104
        .size:           16
        .value_kind:     by_value
      - .address_space:  global
        .offset:         120
        .size:           8
        .value_kind:     global_buffer
      - .offset:         128
        .size:           8
        .value_kind:     by_value
      - .offset:         136
        .size:           4
        .value_kind:     by_value
      - .offset:         140
        .size:           4
        .value_kind:     by_value
      - .offset:         144
        .size:           8
        .value_kind:     by_value
    .group_segment_fixed_size: 0
    .kernarg_segment_align: 8
    .kernarg_segment_size: 152
    .language:       OpenCL C
    .language_version:
      - 2
      - 0
    .max_flat_workgroup_size: 1024
    .name:           _ZN9rocsolver6v33100L16mfma_gemm_kernelI19rocblas_complex_numIdEiS3_PS3_PKS4_S6_EEv18rocblas_operation_S7_T0_S8_S8_T1_T2_lS8_S8_lT3_lS8_S8_lS9_T4_lS8_S8_l
    .private_segment_fixed_size: 0
    .sgpr_count:     4
    .sgpr_spill_count: 0
    .symbol:         _ZN9rocsolver6v33100L16mfma_gemm_kernelI19rocblas_complex_numIdEiS3_PS3_PKS4_S6_EEv18rocblas_operation_S7_T0_S8_S8_T1_T2_lS8_S8_lT3_lS8_S8_lS9_T4_lS8_S8_l.kd
    .uniform_work_group_size: 1
    .uses_dynamic_stack: false
    .vgpr_count:     0
    .vgpr_spill_count: 0
    .wavefront_size: 64
  - .args:
      - .offset:         0
        .size:           4
        .value_kind:     by_value
      - .offset:         4
        .size:           4
        .value_kind:     by_value
      - .offset:         8
        .size:           4
        .value_kind:     by_value
      - .address_space:  global
        .offset:         16
        .size:           8
        .value_kind:     global_buffer
      - .offset:         24
        .size:           1
        .value_kind:     by_value
      - .address_space:  global
        .offset:         32
        .size:           8
        .value_kind:     global_buffer
      - .offset:         40
        .size:           8
        .value_kind:     by_value
      - .offset:         48
        .size:           4
        .value_kind:     by_value
      - .offset:         52
        .size:           4
        .value_kind:     by_value
      - .offset:         56
        .size:           8
        .value_kind:     by_value
      - .offset:         64
        .size:           1
        .value_kind:     by_value
      - .address_space:  global
        .offset:         72
        .size:           8
        .value_kind:     global_buffer
      - .offset:         80
        .size:           8
        .value_kind:     by_value
      - .offset:         88
        .size:           4
        .value_kind:     by_value
      - .offset:         92
        .size:           4
        .value_kind:     by_value
      - .offset:         96
        .size:           8
        .value_kind:     by_value
      - .address_space:  global
        .offset:         104
        .size:           8
        .value_kind:     global_buffer
      - .address_space:  global
        .offset:         112
        .size:           8
        .value_kind:     global_buffer
      - .offset:         120
        .size:           8
        .value_kind:     by_value
      - .offset:         128
        .size:           4
        .value_kind:     by_value
      - .offset:         132
        .size:           4
        .value_kind:     by_value
      - .offset:         136
        .size:           8
        .value_kind:     by_value
      - .offset:         144
        .size:           4
        .value_kind:     hidden_block_count_x
      - .offset:         148
        .size:           4
        .value_kind:     hidden_block_count_y
      - .offset:         152
        .size:           4
        .value_kind:     hidden_block_count_z
      - .offset:         156
        .size:           2
        .value_kind:     hidden_group_size_x
      - .offset:         158
        .size:           2
        .value_kind:     hidden_group_size_y
      - .offset:         160
        .size:           2
        .value_kind:     hidden_group_size_z
      - .offset:         162
        .size:           2
        .value_kind:     hidden_remainder_x
      - .offset:         164
        .size:           2
        .value_kind:     hidden_remainder_y
      - .offset:         166
        .size:           2
        .value_kind:     hidden_remainder_z
      - .offset:         184
        .size:           8
        .value_kind:     hidden_global_offset_x
      - .offset:         192
        .size:           8
        .value_kind:     hidden_global_offset_y
      - .offset:         200
        .size:           8
        .value_kind:     hidden_global_offset_z
      - .offset:         208
        .size:           2
        .value_kind:     hidden_grid_dims
    .group_segment_fixed_size: 0
    .kernarg_segment_align: 8
    .kernarg_segment_size: 400
    .language:       OpenCL C
    .language_version:
      - 2
      - 0
    .max_flat_workgroup_size: 1024
    .name:           _ZN9rocsolver6v33100L11gemm_kernelI19rocblas_complex_numIdEiPKS3_PS3_PKS6_S8_EEvT0_S9_S9_T1_bT2_lS9_S9_lbT3_lS9_S9_lSA_T4_lS9_S9_l
    .private_segment_fixed_size: 0
    .sgpr_count:     44
    .sgpr_spill_count: 0
    .symbol:         _ZN9rocsolver6v33100L11gemm_kernelI19rocblas_complex_numIdEiPKS3_PS3_PKS6_S8_EEvT0_S9_S9_T1_bT2_lS9_S9_lbT3_lS9_S9_lSA_T4_lS9_S9_l.kd
    .uniform_work_group_size: 1
    .uses_dynamic_stack: false
    .vgpr_count:     22
    .vgpr_spill_count: 0
    .wavefront_size: 64
  - .args:
      - .offset:         0
        .size:           4
        .value_kind:     by_value
      - .offset:         4
        .size:           4
        .value_kind:     by_value
      - .offset:         8
        .size:           4
        .value_kind:     by_value
      - .offset:         16
        .size:           16
        .value_kind:     by_value
      - .offset:         32
        .size:           1
        .value_kind:     by_value
      - .address_space:  global
        .offset:         40
        .size:           8
        .value_kind:     global_buffer
      - .offset:         48
        .size:           8
        .value_kind:     by_value
      - .offset:         56
        .size:           4
        .value_kind:     by_value
      - .offset:         60
        .size:           4
        .value_kind:     by_value
      - .offset:         64
        .size:           8
        .value_kind:     by_value
      - .offset:         72
        .size:           1
        .value_kind:     by_value
      - .address_space:  global
        .offset:         80
        .size:           8
        .value_kind:     global_buffer
      - .offset:         88
        .size:           8
        .value_kind:     by_value
      - .offset:         96
        .size:           4
        .value_kind:     by_value
      - .offset:         100
        .size:           4
        .value_kind:     by_value
      - .offset:         104
        .size:           8
        .value_kind:     by_value
      - .offset:         112
        .size:           16
        .value_kind:     by_value
      - .address_space:  global
        .offset:         128
        .size:           8
        .value_kind:     global_buffer
      - .offset:         136
        .size:           8
        .value_kind:     by_value
      - .offset:         144
        .size:           4
        .value_kind:     by_value
      - .offset:         148
        .size:           4
        .value_kind:     by_value
      - .offset:         152
        .size:           8
        .value_kind:     by_value
      - .offset:         160
        .size:           4
        .value_kind:     hidden_block_count_x
      - .offset:         164
        .size:           4
        .value_kind:     hidden_block_count_y
      - .offset:         168
        .size:           4
        .value_kind:     hidden_block_count_z
      - .offset:         172
        .size:           2
        .value_kind:     hidden_group_size_x
      - .offset:         174
        .size:           2
        .value_kind:     hidden_group_size_y
      - .offset:         176
        .size:           2
        .value_kind:     hidden_group_size_z
      - .offset:         178
        .size:           2
        .value_kind:     hidden_remainder_x
      - .offset:         180
        .size:           2
        .value_kind:     hidden_remainder_y
      - .offset:         182
        .size:           2
        .value_kind:     hidden_remainder_z
      - .offset:         200
        .size:           8
        .value_kind:     hidden_global_offset_x
      - .offset:         208
        .size:           8
        .value_kind:     hidden_global_offset_y
      - .offset:         216
        .size:           8
        .value_kind:     hidden_global_offset_z
      - .offset:         224
        .size:           2
        .value_kind:     hidden_grid_dims
    .group_segment_fixed_size: 0
    .kernarg_segment_align: 8
    .kernarg_segment_size: 416
    .language:       OpenCL C
    .language_version:
      - 2
      - 0
    .max_flat_workgroup_size: 1024
    .name:           _ZN9rocsolver6v33100L11gemm_kernelI19rocblas_complex_numIdEiS3_PS3_PKS4_S6_EEvT0_S7_S7_T1_bT2_lS7_S7_lbT3_lS7_S7_lS8_T4_lS7_S7_l
    .private_segment_fixed_size: 0
    .sgpr_count:     44
    .sgpr_spill_count: 0
    .symbol:         _ZN9rocsolver6v33100L11gemm_kernelI19rocblas_complex_numIdEiS3_PS3_PKS4_S6_EEvT0_S7_S7_T1_bT2_lS7_S7_lbT3_lS7_S7_lS8_T4_lS7_S7_l.kd
    .uniform_work_group_size: 1
    .uses_dynamic_stack: false
    .vgpr_count:     22
    .vgpr_spill_count: 0
    .wavefront_size: 64
  - .args:
      - .offset:         0
        .size:           4
        .value_kind:     by_value
      - .offset:         4
        .size:           4
        .value_kind:     by_value
      - .offset:         8
        .size:           4
        .value_kind:     by_value
      - .offset:         12
        .size:           4
        .value_kind:     by_value
      - .offset:         16
        .size:           4
        .value_kind:     by_value
      - .address_space:  global
        .offset:         24
        .size:           8
        .value_kind:     global_buffer
      - .address_space:  global
        .offset:         32
        .size:           8
        .value_kind:     global_buffer
      - .offset:         40
        .size:           8
        .value_kind:     by_value
      - .offset:         48
        .size:           4
        .value_kind:     by_value
      - .offset:         52
        .size:           4
        .value_kind:     by_value
      - .offset:         56
        .size:           8
        .value_kind:     by_value
      - .address_space:  global
        .offset:         64
        .size:           8
        .value_kind:     global_buffer
      - .offset:         72
        .size:           8
        .value_kind:     by_value
      - .offset:         80
        .size:           4
        .value_kind:     by_value
      - .offset:         84
        .size:           4
        .value_kind:     by_value
      - .offset:         88
        .size:           8
        .value_kind:     by_value
      - .address_space:  global
        .offset:         96
        .size:           8
        .value_kind:     global_buffer
      - .address_space:  global
        .offset:         104
        .size:           8
        .value_kind:     global_buffer
      - .offset:         112
        .size:           8
        .value_kind:     by_value
      - .offset:         120
        .size:           4
        .value_kind:     by_value
      - .offset:         124
        .size:           4
        .value_kind:     by_value
      - .offset:         128
        .size:           8
        .value_kind:     by_value
    .group_segment_fixed_size: 0
    .kernarg_segment_align: 8
    .kernarg_segment_size: 136
    .language:       OpenCL C
    .language_version:
      - 2
      - 0
    .max_flat_workgroup_size: 1024
    .name:           _ZN9rocsolver6v33100L16mfma_gemm_kernelI19rocblas_complex_numIdEiPKS3_PKPS3_S6_S8_EEv18rocblas_operation_S9_T0_SA_SA_T1_T2_lSA_SA_lT3_lSA_SA_lSB_T4_lSA_SA_l
    .private_segment_fixed_size: 0
    .sgpr_count:     4
    .sgpr_spill_count: 0
    .symbol:         _ZN9rocsolver6v33100L16mfma_gemm_kernelI19rocblas_complex_numIdEiPKS3_PKPS3_S6_S8_EEv18rocblas_operation_S9_T0_SA_SA_T1_T2_lSA_SA_lT3_lSA_SA_lSB_T4_lSA_SA_l.kd
    .uniform_work_group_size: 1
    .uses_dynamic_stack: false
    .vgpr_count:     0
    .vgpr_spill_count: 0
    .wavefront_size: 64
  - .args:
      - .offset:         0
        .size:           4
        .value_kind:     by_value
      - .offset:         4
        .size:           4
        .value_kind:     by_value
      - .offset:         8
        .size:           4
        .value_kind:     by_value
      - .offset:         12
        .size:           4
        .value_kind:     by_value
      - .offset:         16
        .size:           4
        .value_kind:     by_value
      - .offset:         24
        .size:           16
        .value_kind:     by_value
      - .address_space:  global
        .offset:         40
        .size:           8
        .value_kind:     global_buffer
      - .offset:         48
        .size:           8
        .value_kind:     by_value
      - .offset:         56
        .size:           4
        .value_kind:     by_value
      - .offset:         60
        .size:           4
        .value_kind:     by_value
      - .offset:         64
        .size:           8
        .value_kind:     by_value
      - .address_space:  global
        .offset:         72
        .size:           8
        .value_kind:     global_buffer
      - .offset:         80
        .size:           8
        .value_kind:     by_value
      - .offset:         88
        .size:           4
        .value_kind:     by_value
      - .offset:         92
        .size:           4
        .value_kind:     by_value
      - .offset:         96
        .size:           8
        .value_kind:     by_value
      - .offset:         104
        .size:           16
        .value_kind:     by_value
      - .address_space:  global
        .offset:         120
        .size:           8
        .value_kind:     global_buffer
      - .offset:         128
        .size:           8
        .value_kind:     by_value
      - .offset:         136
        .size:           4
        .value_kind:     by_value
      - .offset:         140
        .size:           4
        .value_kind:     by_value
      - .offset:         144
        .size:           8
        .value_kind:     by_value
    .group_segment_fixed_size: 0
    .kernarg_segment_align: 8
    .kernarg_segment_size: 152
    .language:       OpenCL C
    .language_version:
      - 2
      - 0
    .max_flat_workgroup_size: 1024
    .name:           _ZN9rocsolver6v33100L16mfma_gemm_kernelI19rocblas_complex_numIdEiS3_PKPS3_S4_S6_EEv18rocblas_operation_S7_T0_S8_S8_T1_T2_lS8_S8_lT3_lS8_S8_lS9_T4_lS8_S8_l
    .private_segment_fixed_size: 0
    .sgpr_count:     4
    .sgpr_spill_count: 0
    .symbol:         _ZN9rocsolver6v33100L16mfma_gemm_kernelI19rocblas_complex_numIdEiS3_PKPS3_S4_S6_EEv18rocblas_operation_S7_T0_S8_S8_T1_T2_lS8_S8_lT3_lS8_S8_lS9_T4_lS8_S8_l.kd
    .uniform_work_group_size: 1
    .uses_dynamic_stack: false
    .vgpr_count:     0
    .vgpr_spill_count: 0
    .wavefront_size: 64
  - .args:
      - .offset:         0
        .size:           4
        .value_kind:     by_value
      - .offset:         4
        .size:           4
        .value_kind:     by_value
      - .offset:         8
        .size:           4
        .value_kind:     by_value
      - .address_space:  global
        .offset:         16
        .size:           8
        .value_kind:     global_buffer
      - .offset:         24
        .size:           1
        .value_kind:     by_value
      - .address_space:  global
        .offset:         32
        .size:           8
        .value_kind:     global_buffer
      - .offset:         40
        .size:           8
        .value_kind:     by_value
      - .offset:         48
        .size:           4
        .value_kind:     by_value
      - .offset:         52
        .size:           4
        .value_kind:     by_value
      - .offset:         56
        .size:           8
        .value_kind:     by_value
      - .offset:         64
        .size:           1
        .value_kind:     by_value
      - .address_space:  global
        .offset:         72
        .size:           8
        .value_kind:     global_buffer
      - .offset:         80
        .size:           8
        .value_kind:     by_value
      - .offset:         88
        .size:           4
        .value_kind:     by_value
      - .offset:         92
        .size:           4
        .value_kind:     by_value
      - .offset:         96
        .size:           8
        .value_kind:     by_value
      - .address_space:  global
        .offset:         104
        .size:           8
        .value_kind:     global_buffer
      - .address_space:  global
        .offset:         112
        .size:           8
        .value_kind:     global_buffer
      - .offset:         120
        .size:           8
        .value_kind:     by_value
      - .offset:         128
        .size:           4
        .value_kind:     by_value
      - .offset:         132
        .size:           4
        .value_kind:     by_value
      - .offset:         136
        .size:           8
        .value_kind:     by_value
      - .offset:         144
        .size:           4
        .value_kind:     hidden_block_count_x
      - .offset:         148
        .size:           4
        .value_kind:     hidden_block_count_y
      - .offset:         152
        .size:           4
        .value_kind:     hidden_block_count_z
      - .offset:         156
        .size:           2
        .value_kind:     hidden_group_size_x
      - .offset:         158
        .size:           2
        .value_kind:     hidden_group_size_y
      - .offset:         160
        .size:           2
        .value_kind:     hidden_group_size_z
      - .offset:         162
        .size:           2
        .value_kind:     hidden_remainder_x
      - .offset:         164
        .size:           2
        .value_kind:     hidden_remainder_y
      - .offset:         166
        .size:           2
        .value_kind:     hidden_remainder_z
      - .offset:         184
        .size:           8
        .value_kind:     hidden_global_offset_x
      - .offset:         192
        .size:           8
        .value_kind:     hidden_global_offset_y
      - .offset:         200
        .size:           8
        .value_kind:     hidden_global_offset_z
      - .offset:         208
        .size:           2
        .value_kind:     hidden_grid_dims
    .group_segment_fixed_size: 0
    .kernarg_segment_align: 8
    .kernarg_segment_size: 400
    .language:       OpenCL C
    .language_version:
      - 2
      - 0
    .max_flat_workgroup_size: 1024
    .name:           _ZN9rocsolver6v33100L11gemm_kernelI19rocblas_complex_numIdEiPKS3_PKPS3_S6_S8_EEvT0_S9_S9_T1_bT2_lS9_S9_lbT3_lS9_S9_lSA_T4_lS9_S9_l
    .private_segment_fixed_size: 0
    .sgpr_count:     36
    .sgpr_spill_count: 0
    .symbol:         _ZN9rocsolver6v33100L11gemm_kernelI19rocblas_complex_numIdEiPKS3_PKPS3_S6_S8_EEvT0_S9_S9_T1_bT2_lS9_S9_lbT3_lS9_S9_lSA_T4_lS9_S9_l.kd
    .uniform_work_group_size: 1
    .uses_dynamic_stack: false
    .vgpr_count:     22
    .vgpr_spill_count: 0
    .wavefront_size: 64
  - .args:
      - .offset:         0
        .size:           4
        .value_kind:     by_value
      - .offset:         4
        .size:           4
        .value_kind:     by_value
      - .offset:         8
        .size:           4
        .value_kind:     by_value
      - .offset:         16
        .size:           16
        .value_kind:     by_value
      - .offset:         32
        .size:           1
        .value_kind:     by_value
      - .address_space:  global
        .offset:         40
        .size:           8
        .value_kind:     global_buffer
      - .offset:         48
        .size:           8
        .value_kind:     by_value
      - .offset:         56
        .size:           4
        .value_kind:     by_value
      - .offset:         60
        .size:           4
        .value_kind:     by_value
      - .offset:         64
        .size:           8
        .value_kind:     by_value
      - .offset:         72
        .size:           1
        .value_kind:     by_value
      - .address_space:  global
        .offset:         80
        .size:           8
        .value_kind:     global_buffer
      - .offset:         88
        .size:           8
        .value_kind:     by_value
      - .offset:         96
        .size:           4
        .value_kind:     by_value
      - .offset:         100
        .size:           4
        .value_kind:     by_value
      - .offset:         104
        .size:           8
        .value_kind:     by_value
      - .offset:         112
        .size:           16
        .value_kind:     by_value
      - .address_space:  global
        .offset:         128
        .size:           8
        .value_kind:     global_buffer
      - .offset:         136
        .size:           8
        .value_kind:     by_value
      - .offset:         144
        .size:           4
        .value_kind:     by_value
      - .offset:         148
        .size:           4
        .value_kind:     by_value
      - .offset:         152
        .size:           8
        .value_kind:     by_value
      - .offset:         160
        .size:           4
        .value_kind:     hidden_block_count_x
      - .offset:         164
        .size:           4
        .value_kind:     hidden_block_count_y
      - .offset:         168
        .size:           4
        .value_kind:     hidden_block_count_z
      - .offset:         172
        .size:           2
        .value_kind:     hidden_group_size_x
      - .offset:         174
        .size:           2
        .value_kind:     hidden_group_size_y
      - .offset:         176
        .size:           2
        .value_kind:     hidden_group_size_z
      - .offset:         178
        .size:           2
        .value_kind:     hidden_remainder_x
      - .offset:         180
        .size:           2
        .value_kind:     hidden_remainder_y
      - .offset:         182
        .size:           2
        .value_kind:     hidden_remainder_z
      - .offset:         200
        .size:           8
        .value_kind:     hidden_global_offset_x
      - .offset:         208
        .size:           8
        .value_kind:     hidden_global_offset_y
      - .offset:         216
        .size:           8
        .value_kind:     hidden_global_offset_z
      - .offset:         224
        .size:           2
        .value_kind:     hidden_grid_dims
    .group_segment_fixed_size: 0
    .kernarg_segment_align: 8
    .kernarg_segment_size: 416
    .language:       OpenCL C
    .language_version:
      - 2
      - 0
    .max_flat_workgroup_size: 1024
    .name:           _ZN9rocsolver6v33100L11gemm_kernelI19rocblas_complex_numIdEiS3_PKPS3_S4_S6_EEvT0_S7_S7_T1_bT2_lS7_S7_lbT3_lS7_S7_lS8_T4_lS7_S7_l
    .private_segment_fixed_size: 0
    .sgpr_count:     36
    .sgpr_spill_count: 0
    .symbol:         _ZN9rocsolver6v33100L11gemm_kernelI19rocblas_complex_numIdEiS3_PKPS3_S4_S6_EEvT0_S7_S7_T1_bT2_lS7_S7_lbT3_lS7_S7_lS8_T4_lS7_S7_l.kd
    .uniform_work_group_size: 1
    .uses_dynamic_stack: false
    .vgpr_count:     22
    .vgpr_spill_count: 0
    .wavefront_size: 64
  - .args:
      - .offset:         0
        .size:           4
        .value_kind:     by_value
      - .offset:         4
        .size:           4
        .value_kind:     by_value
      - .offset:         8
        .size:           4
        .value_kind:     by_value
      - .offset:         12
        .size:           4
        .value_kind:     by_value
      - .offset:         16
        .size:           4
        .value_kind:     by_value
      - .address_space:  global
        .offset:         24
        .size:           8
        .value_kind:     global_buffer
      - .address_space:  global
        .offset:         32
        .size:           8
        .value_kind:     global_buffer
      - .offset:         40
        .size:           8
        .value_kind:     by_value
      - .offset:         48
        .size:           4
        .value_kind:     by_value
      - .offset:         52
        .size:           4
        .value_kind:     by_value
      - .offset:         56
        .size:           8
        .value_kind:     by_value
      - .address_space:  global
        .offset:         64
        .size:           8
        .value_kind:     global_buffer
      - .offset:         72
        .size:           8
        .value_kind:     by_value
      - .offset:         80
        .size:           4
        .value_kind:     by_value
      - .offset:         84
        .size:           4
        .value_kind:     by_value
      - .offset:         88
        .size:           8
        .value_kind:     by_value
      - .address_space:  global
        .offset:         96
        .size:           8
        .value_kind:     global_buffer
      - .address_space:  global
        .offset:         104
        .size:           8
        .value_kind:     global_buffer
      - .offset:         112
        .size:           8
        .value_kind:     by_value
      - .offset:         120
        .size:           4
        .value_kind:     by_value
      - .offset:         124
        .size:           4
        .value_kind:     by_value
      - .offset:         128
        .size:           8
        .value_kind:     by_value
    .group_segment_fixed_size: 0
    .kernarg_segment_align: 8
    .kernarg_segment_size: 136
    .language:       OpenCL C
    .language_version:
      - 2
      - 0
    .max_flat_workgroup_size: 1024
    .name:           _ZN9rocsolver6v33100L16mfma_gemm_kernelI19rocblas_complex_numIdEiPKS3_PKPS3_S8_S6_EEv18rocblas_operation_S9_T0_SA_SA_T1_T2_lSA_SA_lT3_lSA_SA_lSB_T4_lSA_SA_l
    .private_segment_fixed_size: 0
    .sgpr_count:     4
    .sgpr_spill_count: 0
    .symbol:         _ZN9rocsolver6v33100L16mfma_gemm_kernelI19rocblas_complex_numIdEiPKS3_PKPS3_S8_S6_EEv18rocblas_operation_S9_T0_SA_SA_T1_T2_lSA_SA_lT3_lSA_SA_lSB_T4_lSA_SA_l.kd
    .uniform_work_group_size: 1
    .uses_dynamic_stack: false
    .vgpr_count:     0
    .vgpr_spill_count: 0
    .wavefront_size: 64
  - .args:
      - .offset:         0
        .size:           4
        .value_kind:     by_value
      - .offset:         4
        .size:           4
        .value_kind:     by_value
      - .offset:         8
        .size:           4
        .value_kind:     by_value
      - .offset:         12
        .size:           4
        .value_kind:     by_value
      - .offset:         16
        .size:           4
        .value_kind:     by_value
      - .offset:         24
        .size:           16
        .value_kind:     by_value
      - .address_space:  global
        .offset:         40
        .size:           8
        .value_kind:     global_buffer
      - .offset:         48
        .size:           8
        .value_kind:     by_value
      - .offset:         56
        .size:           4
        .value_kind:     by_value
      - .offset:         60
        .size:           4
        .value_kind:     by_value
      - .offset:         64
        .size:           8
        .value_kind:     by_value
      - .address_space:  global
        .offset:         72
        .size:           8
        .value_kind:     global_buffer
      - .offset:         80
        .size:           8
        .value_kind:     by_value
      - .offset:         88
        .size:           4
        .value_kind:     by_value
      - .offset:         92
        .size:           4
        .value_kind:     by_value
      - .offset:         96
        .size:           8
        .value_kind:     by_value
      - .offset:         104
        .size:           16
        .value_kind:     by_value
      - .address_space:  global
        .offset:         120
        .size:           8
        .value_kind:     global_buffer
      - .offset:         128
        .size:           8
        .value_kind:     by_value
      - .offset:         136
        .size:           4
        .value_kind:     by_value
      - .offset:         140
        .size:           4
        .value_kind:     by_value
      - .offset:         144
        .size:           8
        .value_kind:     by_value
    .group_segment_fixed_size: 0
    .kernarg_segment_align: 8
    .kernarg_segment_size: 152
    .language:       OpenCL C
    .language_version:
      - 2
      - 0
    .max_flat_workgroup_size: 1024
    .name:           _ZN9rocsolver6v33100L16mfma_gemm_kernelI19rocblas_complex_numIdEiS3_PKPS3_S6_S4_EEv18rocblas_operation_S7_T0_S8_S8_T1_T2_lS8_S8_lT3_lS8_S8_lS9_T4_lS8_S8_l
    .private_segment_fixed_size: 0
    .sgpr_count:     4
    .sgpr_spill_count: 0
    .symbol:         _ZN9rocsolver6v33100L16mfma_gemm_kernelI19rocblas_complex_numIdEiS3_PKPS3_S6_S4_EEv18rocblas_operation_S7_T0_S8_S8_T1_T2_lS8_S8_lT3_lS8_S8_lS9_T4_lS8_S8_l.kd
    .uniform_work_group_size: 1
    .uses_dynamic_stack: false
    .vgpr_count:     0
    .vgpr_spill_count: 0
    .wavefront_size: 64
  - .args:
      - .offset:         0
        .size:           4
        .value_kind:     by_value
      - .offset:         4
        .size:           4
        .value_kind:     by_value
      - .offset:         8
        .size:           4
        .value_kind:     by_value
      - .address_space:  global
        .offset:         16
        .size:           8
        .value_kind:     global_buffer
      - .offset:         24
        .size:           1
        .value_kind:     by_value
      - .address_space:  global
        .offset:         32
        .size:           8
        .value_kind:     global_buffer
      - .offset:         40
        .size:           8
        .value_kind:     by_value
      - .offset:         48
        .size:           4
        .value_kind:     by_value
      - .offset:         52
        .size:           4
        .value_kind:     by_value
      - .offset:         56
        .size:           8
        .value_kind:     by_value
      - .offset:         64
        .size:           1
        .value_kind:     by_value
      - .address_space:  global
        .offset:         72
        .size:           8
        .value_kind:     global_buffer
      - .offset:         80
        .size:           8
        .value_kind:     by_value
      - .offset:         88
        .size:           4
        .value_kind:     by_value
      - .offset:         92
        .size:           4
        .value_kind:     by_value
      - .offset:         96
        .size:           8
        .value_kind:     by_value
      - .address_space:  global
        .offset:         104
        .size:           8
        .value_kind:     global_buffer
      - .address_space:  global
        .offset:         112
        .size:           8
        .value_kind:     global_buffer
      - .offset:         120
        .size:           8
        .value_kind:     by_value
      - .offset:         128
        .size:           4
        .value_kind:     by_value
      - .offset:         132
        .size:           4
        .value_kind:     by_value
      - .offset:         136
        .size:           8
        .value_kind:     by_value
      - .offset:         144
        .size:           4
        .value_kind:     hidden_block_count_x
      - .offset:         148
        .size:           4
        .value_kind:     hidden_block_count_y
      - .offset:         152
        .size:           4
        .value_kind:     hidden_block_count_z
      - .offset:         156
        .size:           2
        .value_kind:     hidden_group_size_x
      - .offset:         158
        .size:           2
        .value_kind:     hidden_group_size_y
      - .offset:         160
        .size:           2
        .value_kind:     hidden_group_size_z
      - .offset:         162
        .size:           2
        .value_kind:     hidden_remainder_x
      - .offset:         164
        .size:           2
        .value_kind:     hidden_remainder_y
      - .offset:         166
        .size:           2
        .value_kind:     hidden_remainder_z
      - .offset:         184
        .size:           8
        .value_kind:     hidden_global_offset_x
      - .offset:         192
        .size:           8
        .value_kind:     hidden_global_offset_y
      - .offset:         200
        .size:           8
        .value_kind:     hidden_global_offset_z
      - .offset:         208
        .size:           2
        .value_kind:     hidden_grid_dims
    .group_segment_fixed_size: 0
    .kernarg_segment_align: 8
    .kernarg_segment_size: 400
    .language:       OpenCL C
    .language_version:
      - 2
      - 0
    .max_flat_workgroup_size: 1024
    .name:           _ZN9rocsolver6v33100L11gemm_kernelI19rocblas_complex_numIdEiPKS3_PKPS3_S8_S6_EEvT0_S9_S9_T1_bT2_lS9_S9_lbT3_lS9_S9_lSA_T4_lS9_S9_l
    .private_segment_fixed_size: 0
    .sgpr_count:     35
    .sgpr_spill_count: 0
    .symbol:         _ZN9rocsolver6v33100L11gemm_kernelI19rocblas_complex_numIdEiPKS3_PKPS3_S8_S6_EEvT0_S9_S9_T1_bT2_lS9_S9_lbT3_lS9_S9_lSA_T4_lS9_S9_l.kd
    .uniform_work_group_size: 1
    .uses_dynamic_stack: false
    .vgpr_count:     22
    .vgpr_spill_count: 0
    .wavefront_size: 64
  - .args:
      - .offset:         0
        .size:           4
        .value_kind:     by_value
      - .offset:         4
        .size:           4
        .value_kind:     by_value
      - .offset:         8
        .size:           4
        .value_kind:     by_value
      - .offset:         16
        .size:           16
        .value_kind:     by_value
      - .offset:         32
        .size:           1
        .value_kind:     by_value
      - .address_space:  global
        .offset:         40
        .size:           8
        .value_kind:     global_buffer
      - .offset:         48
        .size:           8
        .value_kind:     by_value
      - .offset:         56
        .size:           4
        .value_kind:     by_value
      - .offset:         60
        .size:           4
        .value_kind:     by_value
      - .offset:         64
        .size:           8
        .value_kind:     by_value
      - .offset:         72
        .size:           1
        .value_kind:     by_value
      - .address_space:  global
        .offset:         80
        .size:           8
        .value_kind:     global_buffer
      - .offset:         88
        .size:           8
        .value_kind:     by_value
      - .offset:         96
        .size:           4
        .value_kind:     by_value
      - .offset:         100
        .size:           4
        .value_kind:     by_value
      - .offset:         104
        .size:           8
        .value_kind:     by_value
      - .offset:         112
        .size:           16
        .value_kind:     by_value
      - .address_space:  global
        .offset:         128
        .size:           8
        .value_kind:     global_buffer
      - .offset:         136
        .size:           8
        .value_kind:     by_value
      - .offset:         144
        .size:           4
        .value_kind:     by_value
      - .offset:         148
        .size:           4
        .value_kind:     by_value
      - .offset:         152
        .size:           8
        .value_kind:     by_value
      - .offset:         160
        .size:           4
        .value_kind:     hidden_block_count_x
      - .offset:         164
        .size:           4
        .value_kind:     hidden_block_count_y
      - .offset:         168
        .size:           4
        .value_kind:     hidden_block_count_z
      - .offset:         172
        .size:           2
        .value_kind:     hidden_group_size_x
      - .offset:         174
        .size:           2
        .value_kind:     hidden_group_size_y
      - .offset:         176
        .size:           2
        .value_kind:     hidden_group_size_z
      - .offset:         178
        .size:           2
        .value_kind:     hidden_remainder_x
      - .offset:         180
        .size:           2
        .value_kind:     hidden_remainder_y
      - .offset:         182
        .size:           2
        .value_kind:     hidden_remainder_z
      - .offset:         200
        .size:           8
        .value_kind:     hidden_global_offset_x
      - .offset:         208
        .size:           8
        .value_kind:     hidden_global_offset_y
      - .offset:         216
        .size:           8
        .value_kind:     hidden_global_offset_z
      - .offset:         224
        .size:           2
        .value_kind:     hidden_grid_dims
    .group_segment_fixed_size: 0
    .kernarg_segment_align: 8
    .kernarg_segment_size: 416
    .language:       OpenCL C
    .language_version:
      - 2
      - 0
    .max_flat_workgroup_size: 1024
    .name:           _ZN9rocsolver6v33100L11gemm_kernelI19rocblas_complex_numIdEiS3_PKPS3_S6_S4_EEvT0_S7_S7_T1_bT2_lS7_S7_lbT3_lS7_S7_lS8_T4_lS7_S7_l
    .private_segment_fixed_size: 0
    .sgpr_count:     27
    .sgpr_spill_count: 0
    .symbol:         _ZN9rocsolver6v33100L11gemm_kernelI19rocblas_complex_numIdEiS3_PKPS3_S6_S4_EEvT0_S7_S7_T1_bT2_lS7_S7_lbT3_lS7_S7_lS8_T4_lS7_S7_l.kd
    .uniform_work_group_size: 1
    .uses_dynamic_stack: false
    .vgpr_count:     22
    .vgpr_spill_count: 0
    .wavefront_size: 64
  - .args:
      - .offset:         0
        .size:           4
        .value_kind:     by_value
      - .offset:         4
        .size:           4
        .value_kind:     by_value
      - .offset:         8
        .size:           4
        .value_kind:     by_value
      - .offset:         12
        .size:           4
        .value_kind:     by_value
      - .offset:         16
        .size:           4
        .value_kind:     by_value
      - .address_space:  global
        .offset:         24
        .size:           8
        .value_kind:     global_buffer
      - .address_space:  global
        .offset:         32
        .size:           8
        .value_kind:     global_buffer
      - .offset:         40
        .size:           8
        .value_kind:     by_value
      - .offset:         48
        .size:           4
        .value_kind:     by_value
      - .offset:         52
        .size:           4
        .value_kind:     by_value
      - .offset:         56
        .size:           8
        .value_kind:     by_value
      - .address_space:  global
        .offset:         64
        .size:           8
        .value_kind:     global_buffer
      - .offset:         72
        .size:           8
        .value_kind:     by_value
      - .offset:         80
        .size:           4
        .value_kind:     by_value
      - .offset:         84
        .size:           4
        .value_kind:     by_value
      - .offset:         88
        .size:           8
        .value_kind:     by_value
      - .address_space:  global
        .offset:         96
        .size:           8
        .value_kind:     global_buffer
      - .address_space:  global
        .offset:         104
        .size:           8
        .value_kind:     global_buffer
      - .offset:         112
        .size:           8
        .value_kind:     by_value
      - .offset:         120
        .size:           4
        .value_kind:     by_value
      - .offset:         124
        .size:           4
        .value_kind:     by_value
      - .offset:         128
        .size:           8
        .value_kind:     by_value
    .group_segment_fixed_size: 0
    .kernarg_segment_align: 8
    .kernarg_segment_size: 136
    .language:       OpenCL C
    .language_version:
      - 2
      - 0
    .max_flat_workgroup_size: 1024
    .name:           _ZN9rocsolver6v33100L16mfma_gemm_kernelI19rocblas_complex_numIdEiPKS3_PKPS3_S6_S6_EEv18rocblas_operation_S9_T0_SA_SA_T1_T2_lSA_SA_lT3_lSA_SA_lSB_T4_lSA_SA_l
    .private_segment_fixed_size: 0
    .sgpr_count:     4
    .sgpr_spill_count: 0
    .symbol:         _ZN9rocsolver6v33100L16mfma_gemm_kernelI19rocblas_complex_numIdEiPKS3_PKPS3_S6_S6_EEv18rocblas_operation_S9_T0_SA_SA_T1_T2_lSA_SA_lT3_lSA_SA_lSB_T4_lSA_SA_l.kd
    .uniform_work_group_size: 1
    .uses_dynamic_stack: false
    .vgpr_count:     0
    .vgpr_spill_count: 0
    .wavefront_size: 64
  - .args:
      - .offset:         0
        .size:           4
        .value_kind:     by_value
      - .offset:         4
        .size:           4
        .value_kind:     by_value
      - .offset:         8
        .size:           4
        .value_kind:     by_value
      - .offset:         12
        .size:           4
        .value_kind:     by_value
      - .offset:         16
        .size:           4
        .value_kind:     by_value
      - .offset:         24
        .size:           16
        .value_kind:     by_value
      - .address_space:  global
        .offset:         40
        .size:           8
        .value_kind:     global_buffer
      - .offset:         48
        .size:           8
        .value_kind:     by_value
      - .offset:         56
        .size:           4
        .value_kind:     by_value
      - .offset:         60
        .size:           4
        .value_kind:     by_value
      - .offset:         64
        .size:           8
        .value_kind:     by_value
      - .address_space:  global
        .offset:         72
        .size:           8
        .value_kind:     global_buffer
      - .offset:         80
        .size:           8
        .value_kind:     by_value
      - .offset:         88
        .size:           4
        .value_kind:     by_value
      - .offset:         92
        .size:           4
        .value_kind:     by_value
      - .offset:         96
        .size:           8
        .value_kind:     by_value
      - .offset:         104
        .size:           16
        .value_kind:     by_value
      - .address_space:  global
        .offset:         120
        .size:           8
        .value_kind:     global_buffer
      - .offset:         128
        .size:           8
        .value_kind:     by_value
      - .offset:         136
        .size:           4
        .value_kind:     by_value
      - .offset:         140
        .size:           4
        .value_kind:     by_value
      - .offset:         144
        .size:           8
        .value_kind:     by_value
    .group_segment_fixed_size: 0
    .kernarg_segment_align: 8
    .kernarg_segment_size: 152
    .language:       OpenCL C
    .language_version:
      - 2
      - 0
    .max_flat_workgroup_size: 1024
    .name:           _ZN9rocsolver6v33100L16mfma_gemm_kernelI19rocblas_complex_numIdEiS3_PKPS3_S4_S4_EEv18rocblas_operation_S7_T0_S8_S8_T1_T2_lS8_S8_lT3_lS8_S8_lS9_T4_lS8_S8_l
    .private_segment_fixed_size: 0
    .sgpr_count:     4
    .sgpr_spill_count: 0
    .symbol:         _ZN9rocsolver6v33100L16mfma_gemm_kernelI19rocblas_complex_numIdEiS3_PKPS3_S4_S4_EEv18rocblas_operation_S7_T0_S8_S8_T1_T2_lS8_S8_lT3_lS8_S8_lS9_T4_lS8_S8_l.kd
    .uniform_work_group_size: 1
    .uses_dynamic_stack: false
    .vgpr_count:     0
    .vgpr_spill_count: 0
    .wavefront_size: 64
  - .args:
      - .offset:         0
        .size:           4
        .value_kind:     by_value
      - .offset:         4
        .size:           4
        .value_kind:     by_value
      - .offset:         8
        .size:           4
        .value_kind:     by_value
      - .address_space:  global
        .offset:         16
        .size:           8
        .value_kind:     global_buffer
      - .offset:         24
        .size:           1
        .value_kind:     by_value
      - .address_space:  global
        .offset:         32
        .size:           8
        .value_kind:     global_buffer
      - .offset:         40
        .size:           8
        .value_kind:     by_value
      - .offset:         48
        .size:           4
        .value_kind:     by_value
      - .offset:         52
        .size:           4
        .value_kind:     by_value
      - .offset:         56
        .size:           8
        .value_kind:     by_value
      - .offset:         64
        .size:           1
        .value_kind:     by_value
      - .address_space:  global
        .offset:         72
        .size:           8
        .value_kind:     global_buffer
      - .offset:         80
        .size:           8
        .value_kind:     by_value
      - .offset:         88
        .size:           4
        .value_kind:     by_value
      - .offset:         92
        .size:           4
        .value_kind:     by_value
      - .offset:         96
        .size:           8
        .value_kind:     by_value
      - .address_space:  global
        .offset:         104
        .size:           8
        .value_kind:     global_buffer
      - .address_space:  global
        .offset:         112
        .size:           8
        .value_kind:     global_buffer
      - .offset:         120
        .size:           8
        .value_kind:     by_value
      - .offset:         128
        .size:           4
        .value_kind:     by_value
      - .offset:         132
        .size:           4
        .value_kind:     by_value
      - .offset:         136
        .size:           8
        .value_kind:     by_value
      - .offset:         144
        .size:           4
        .value_kind:     hidden_block_count_x
      - .offset:         148
        .size:           4
        .value_kind:     hidden_block_count_y
      - .offset:         152
        .size:           4
        .value_kind:     hidden_block_count_z
      - .offset:         156
        .size:           2
        .value_kind:     hidden_group_size_x
      - .offset:         158
        .size:           2
        .value_kind:     hidden_group_size_y
      - .offset:         160
        .size:           2
        .value_kind:     hidden_group_size_z
      - .offset:         162
        .size:           2
        .value_kind:     hidden_remainder_x
      - .offset:         164
        .size:           2
        .value_kind:     hidden_remainder_y
      - .offset:         166
        .size:           2
        .value_kind:     hidden_remainder_z
      - .offset:         184
        .size:           8
        .value_kind:     hidden_global_offset_x
      - .offset:         192
        .size:           8
        .value_kind:     hidden_global_offset_y
      - .offset:         200
        .size:           8
        .value_kind:     hidden_global_offset_z
      - .offset:         208
        .size:           2
        .value_kind:     hidden_grid_dims
    .group_segment_fixed_size: 0
    .kernarg_segment_align: 8
    .kernarg_segment_size: 400
    .language:       OpenCL C
    .language_version:
      - 2
      - 0
    .max_flat_workgroup_size: 1024
    .name:           _ZN9rocsolver6v33100L11gemm_kernelI19rocblas_complex_numIdEiPKS3_PKPS3_S6_S6_EEvT0_S9_S9_T1_bT2_lS9_S9_lbT3_lS9_S9_lSA_T4_lS9_S9_l
    .private_segment_fixed_size: 0
    .sgpr_count:     35
    .sgpr_spill_count: 0
    .symbol:         _ZN9rocsolver6v33100L11gemm_kernelI19rocblas_complex_numIdEiPKS3_PKPS3_S6_S6_EEvT0_S9_S9_T1_bT2_lS9_S9_lbT3_lS9_S9_lSA_T4_lS9_S9_l.kd
    .uniform_work_group_size: 1
    .uses_dynamic_stack: false
    .vgpr_count:     22
    .vgpr_spill_count: 0
    .wavefront_size: 64
  - .args:
      - .offset:         0
        .size:           4
        .value_kind:     by_value
      - .offset:         4
        .size:           4
        .value_kind:     by_value
      - .offset:         8
        .size:           4
        .value_kind:     by_value
      - .offset:         16
        .size:           16
        .value_kind:     by_value
      - .offset:         32
        .size:           1
        .value_kind:     by_value
      - .address_space:  global
        .offset:         40
        .size:           8
        .value_kind:     global_buffer
      - .offset:         48
        .size:           8
        .value_kind:     by_value
      - .offset:         56
        .size:           4
        .value_kind:     by_value
      - .offset:         60
        .size:           4
        .value_kind:     by_value
      - .offset:         64
        .size:           8
        .value_kind:     by_value
      - .offset:         72
        .size:           1
        .value_kind:     by_value
      - .address_space:  global
        .offset:         80
        .size:           8
        .value_kind:     global_buffer
      - .offset:         88
        .size:           8
        .value_kind:     by_value
      - .offset:         96
        .size:           4
        .value_kind:     by_value
      - .offset:         100
        .size:           4
        .value_kind:     by_value
      - .offset:         104
        .size:           8
        .value_kind:     by_value
      - .offset:         112
        .size:           16
        .value_kind:     by_value
      - .address_space:  global
        .offset:         128
        .size:           8
        .value_kind:     global_buffer
      - .offset:         136
        .size:           8
        .value_kind:     by_value
      - .offset:         144
        .size:           4
        .value_kind:     by_value
      - .offset:         148
        .size:           4
        .value_kind:     by_value
      - .offset:         152
        .size:           8
        .value_kind:     by_value
      - .offset:         160
        .size:           4
        .value_kind:     hidden_block_count_x
      - .offset:         164
        .size:           4
        .value_kind:     hidden_block_count_y
      - .offset:         168
        .size:           4
        .value_kind:     hidden_block_count_z
      - .offset:         172
        .size:           2
        .value_kind:     hidden_group_size_x
      - .offset:         174
        .size:           2
        .value_kind:     hidden_group_size_y
      - .offset:         176
        .size:           2
        .value_kind:     hidden_group_size_z
      - .offset:         178
        .size:           2
        .value_kind:     hidden_remainder_x
      - .offset:         180
        .size:           2
        .value_kind:     hidden_remainder_y
      - .offset:         182
        .size:           2
        .value_kind:     hidden_remainder_z
      - .offset:         200
        .size:           8
        .value_kind:     hidden_global_offset_x
      - .offset:         208
        .size:           8
        .value_kind:     hidden_global_offset_y
      - .offset:         216
        .size:           8
        .value_kind:     hidden_global_offset_z
      - .offset:         224
        .size:           2
        .value_kind:     hidden_grid_dims
    .group_segment_fixed_size: 0
    .kernarg_segment_align: 8
    .kernarg_segment_size: 416
    .language:       OpenCL C
    .language_version:
      - 2
      - 0
    .max_flat_workgroup_size: 1024
    .name:           _ZN9rocsolver6v33100L11gemm_kernelI19rocblas_complex_numIdEiS3_PKPS3_S4_S4_EEvT0_S7_S7_T1_bT2_lS7_S7_lbT3_lS7_S7_lS8_T4_lS7_S7_l
    .private_segment_fixed_size: 0
    .sgpr_count:     35
    .sgpr_spill_count: 0
    .symbol:         _ZN9rocsolver6v33100L11gemm_kernelI19rocblas_complex_numIdEiS3_PKPS3_S4_S4_EEvT0_S7_S7_T1_bT2_lS7_S7_lbT3_lS7_S7_lS8_T4_lS7_S7_l.kd
    .uniform_work_group_size: 1
    .uses_dynamic_stack: false
    .vgpr_count:     22
    .vgpr_spill_count: 0
    .wavefront_size: 64
  - .args:
      - .offset:         0
        .size:           4
        .value_kind:     by_value
      - .offset:         4
        .size:           4
        .value_kind:     by_value
      - .offset:         8
        .size:           4
        .value_kind:     by_value
      - .offset:         12
        .size:           4
        .value_kind:     by_value
      - .offset:         16
        .size:           4
        .value_kind:     by_value
      - .address_space:  global
        .offset:         24
        .size:           8
        .value_kind:     global_buffer
      - .address_space:  global
        .offset:         32
        .size:           8
        .value_kind:     global_buffer
      - .offset:         40
        .size:           8
        .value_kind:     by_value
      - .offset:         48
        .size:           4
        .value_kind:     by_value
      - .offset:         52
        .size:           4
        .value_kind:     by_value
      - .offset:         56
        .size:           8
        .value_kind:     by_value
      - .address_space:  global
        .offset:         64
        .size:           8
        .value_kind:     global_buffer
      - .offset:         72
        .size:           8
        .value_kind:     by_value
      - .offset:         80
        .size:           4
        .value_kind:     by_value
      - .offset:         84
        .size:           4
        .value_kind:     by_value
      - .offset:         88
        .size:           8
        .value_kind:     by_value
      - .address_space:  global
        .offset:         96
        .size:           8
        .value_kind:     global_buffer
      - .address_space:  global
        .offset:         104
        .size:           8
        .value_kind:     global_buffer
      - .offset:         112
        .size:           8
        .value_kind:     by_value
      - .offset:         120
        .size:           4
        .value_kind:     by_value
      - .offset:         124
        .size:           4
        .value_kind:     by_value
      - .offset:         128
        .size:           8
        .value_kind:     by_value
    .group_segment_fixed_size: 0
    .kernarg_segment_align: 8
    .kernarg_segment_size: 136
    .language:       OpenCL C
    .language_version:
      - 2
      - 0
    .max_flat_workgroup_size: 1024
    .name:           _ZN9rocsolver6v33100L16mfma_gemm_kernelI19rocblas_complex_numIdEiPKS3_PS3_PKS6_S6_EEv18rocblas_operation_S9_T0_SA_SA_T1_T2_lSA_SA_lT3_lSA_SA_lSB_T4_lSA_SA_l
    .private_segment_fixed_size: 0
    .sgpr_count:     4
    .sgpr_spill_count: 0
    .symbol:         _ZN9rocsolver6v33100L16mfma_gemm_kernelI19rocblas_complex_numIdEiPKS3_PS3_PKS6_S6_EEv18rocblas_operation_S9_T0_SA_SA_T1_T2_lSA_SA_lT3_lSA_SA_lSB_T4_lSA_SA_l.kd
    .uniform_work_group_size: 1
    .uses_dynamic_stack: false
    .vgpr_count:     0
    .vgpr_spill_count: 0
    .wavefront_size: 64
  - .args:
      - .offset:         0
        .size:           4
        .value_kind:     by_value
      - .offset:         4
        .size:           4
        .value_kind:     by_value
      - .offset:         8
        .size:           4
        .value_kind:     by_value
      - .offset:         12
        .size:           4
        .value_kind:     by_value
      - .offset:         16
        .size:           4
        .value_kind:     by_value
      - .offset:         24
        .size:           16
        .value_kind:     by_value
      - .address_space:  global
        .offset:         40
        .size:           8
        .value_kind:     global_buffer
      - .offset:         48
        .size:           8
        .value_kind:     by_value
      - .offset:         56
        .size:           4
        .value_kind:     by_value
      - .offset:         60
        .size:           4
        .value_kind:     by_value
      - .offset:         64
        .size:           8
        .value_kind:     by_value
      - .address_space:  global
        .offset:         72
        .size:           8
        .value_kind:     global_buffer
      - .offset:         80
        .size:           8
        .value_kind:     by_value
      - .offset:         88
        .size:           4
        .value_kind:     by_value
      - .offset:         92
        .size:           4
        .value_kind:     by_value
      - .offset:         96
        .size:           8
        .value_kind:     by_value
      - .offset:         104
        .size:           16
        .value_kind:     by_value
      - .address_space:  global
        .offset:         120
        .size:           8
        .value_kind:     global_buffer
      - .offset:         128
        .size:           8
        .value_kind:     by_value
      - .offset:         136
        .size:           4
        .value_kind:     by_value
      - .offset:         140
        .size:           4
        .value_kind:     by_value
      - .offset:         144
        .size:           8
        .value_kind:     by_value
    .group_segment_fixed_size: 0
    .kernarg_segment_align: 8
    .kernarg_segment_size: 152
    .language:       OpenCL C
    .language_version:
      - 2
      - 0
    .max_flat_workgroup_size: 1024
    .name:           _ZN9rocsolver6v33100L16mfma_gemm_kernelI19rocblas_complex_numIdEiS3_PS3_PKS4_S4_EEv18rocblas_operation_S7_T0_S8_S8_T1_T2_lS8_S8_lT3_lS8_S8_lS9_T4_lS8_S8_l
    .private_segment_fixed_size: 0
    .sgpr_count:     4
    .sgpr_spill_count: 0
    .symbol:         _ZN9rocsolver6v33100L16mfma_gemm_kernelI19rocblas_complex_numIdEiS3_PS3_PKS4_S4_EEv18rocblas_operation_S7_T0_S8_S8_T1_T2_lS8_S8_lT3_lS8_S8_lS9_T4_lS8_S8_l.kd
    .uniform_work_group_size: 1
    .uses_dynamic_stack: false
    .vgpr_count:     0
    .vgpr_spill_count: 0
    .wavefront_size: 64
  - .args:
      - .offset:         0
        .size:           4
        .value_kind:     by_value
      - .offset:         4
        .size:           4
        .value_kind:     by_value
      - .offset:         8
        .size:           4
        .value_kind:     by_value
      - .address_space:  global
        .offset:         16
        .size:           8
        .value_kind:     global_buffer
      - .offset:         24
        .size:           1
        .value_kind:     by_value
      - .address_space:  global
        .offset:         32
        .size:           8
        .value_kind:     global_buffer
      - .offset:         40
        .size:           8
        .value_kind:     by_value
      - .offset:         48
        .size:           4
        .value_kind:     by_value
      - .offset:         52
        .size:           4
        .value_kind:     by_value
      - .offset:         56
        .size:           8
        .value_kind:     by_value
      - .offset:         64
        .size:           1
        .value_kind:     by_value
      - .address_space:  global
        .offset:         72
        .size:           8
        .value_kind:     global_buffer
      - .offset:         80
        .size:           8
        .value_kind:     by_value
      - .offset:         88
        .size:           4
        .value_kind:     by_value
      - .offset:         92
        .size:           4
        .value_kind:     by_value
      - .offset:         96
        .size:           8
        .value_kind:     by_value
      - .address_space:  global
        .offset:         104
        .size:           8
        .value_kind:     global_buffer
      - .address_space:  global
        .offset:         112
        .size:           8
        .value_kind:     global_buffer
      - .offset:         120
        .size:           8
        .value_kind:     by_value
      - .offset:         128
        .size:           4
        .value_kind:     by_value
      - .offset:         132
        .size:           4
        .value_kind:     by_value
      - .offset:         136
        .size:           8
        .value_kind:     by_value
      - .offset:         144
        .size:           4
        .value_kind:     hidden_block_count_x
      - .offset:         148
        .size:           4
        .value_kind:     hidden_block_count_y
      - .offset:         152
        .size:           4
        .value_kind:     hidden_block_count_z
      - .offset:         156
        .size:           2
        .value_kind:     hidden_group_size_x
      - .offset:         158
        .size:           2
        .value_kind:     hidden_group_size_y
      - .offset:         160
        .size:           2
        .value_kind:     hidden_group_size_z
      - .offset:         162
        .size:           2
        .value_kind:     hidden_remainder_x
      - .offset:         164
        .size:           2
        .value_kind:     hidden_remainder_y
      - .offset:         166
        .size:           2
        .value_kind:     hidden_remainder_z
      - .offset:         184
        .size:           8
        .value_kind:     hidden_global_offset_x
      - .offset:         192
        .size:           8
        .value_kind:     hidden_global_offset_y
      - .offset:         200
        .size:           8
        .value_kind:     hidden_global_offset_z
      - .offset:         208
        .size:           2
        .value_kind:     hidden_grid_dims
    .group_segment_fixed_size: 0
    .kernarg_segment_align: 8
    .kernarg_segment_size: 400
    .language:       OpenCL C
    .language_version:
      - 2
      - 0
    .max_flat_workgroup_size: 1024
    .name:           _ZN9rocsolver6v33100L11gemm_kernelI19rocblas_complex_numIdEiPKS3_PS3_PKS6_S6_EEvT0_S9_S9_T1_bT2_lS9_S9_lbT3_lS9_S9_lSA_T4_lS9_S9_l
    .private_segment_fixed_size: 0
    .sgpr_count:     35
    .sgpr_spill_count: 0
    .symbol:         _ZN9rocsolver6v33100L11gemm_kernelI19rocblas_complex_numIdEiPKS3_PS3_PKS6_S6_EEvT0_S9_S9_T1_bT2_lS9_S9_lbT3_lS9_S9_lSA_T4_lS9_S9_l.kd
    .uniform_work_group_size: 1
    .uses_dynamic_stack: false
    .vgpr_count:     22
    .vgpr_spill_count: 0
    .wavefront_size: 64
  - .args:
      - .offset:         0
        .size:           4
        .value_kind:     by_value
      - .offset:         4
        .size:           4
        .value_kind:     by_value
      - .offset:         8
        .size:           4
        .value_kind:     by_value
      - .offset:         16
        .size:           16
        .value_kind:     by_value
      - .offset:         32
        .size:           1
        .value_kind:     by_value
      - .address_space:  global
        .offset:         40
        .size:           8
        .value_kind:     global_buffer
      - .offset:         48
        .size:           8
        .value_kind:     by_value
      - .offset:         56
        .size:           4
        .value_kind:     by_value
      - .offset:         60
        .size:           4
        .value_kind:     by_value
      - .offset:         64
        .size:           8
        .value_kind:     by_value
      - .offset:         72
        .size:           1
        .value_kind:     by_value
      - .address_space:  global
        .offset:         80
        .size:           8
        .value_kind:     global_buffer
      - .offset:         88
        .size:           8
        .value_kind:     by_value
      - .offset:         96
        .size:           4
        .value_kind:     by_value
      - .offset:         100
        .size:           4
        .value_kind:     by_value
      - .offset:         104
        .size:           8
        .value_kind:     by_value
      - .offset:         112
        .size:           16
        .value_kind:     by_value
      - .address_space:  global
        .offset:         128
        .size:           8
        .value_kind:     global_buffer
      - .offset:         136
        .size:           8
        .value_kind:     by_value
      - .offset:         144
        .size:           4
        .value_kind:     by_value
      - .offset:         148
        .size:           4
        .value_kind:     by_value
      - .offset:         152
        .size:           8
        .value_kind:     by_value
      - .offset:         160
        .size:           4
        .value_kind:     hidden_block_count_x
      - .offset:         164
        .size:           4
        .value_kind:     hidden_block_count_y
      - .offset:         168
        .size:           4
        .value_kind:     hidden_block_count_z
      - .offset:         172
        .size:           2
        .value_kind:     hidden_group_size_x
      - .offset:         174
        .size:           2
        .value_kind:     hidden_group_size_y
      - .offset:         176
        .size:           2
        .value_kind:     hidden_group_size_z
      - .offset:         178
        .size:           2
        .value_kind:     hidden_remainder_x
      - .offset:         180
        .size:           2
        .value_kind:     hidden_remainder_y
      - .offset:         182
        .size:           2
        .value_kind:     hidden_remainder_z
      - .offset:         200
        .size:           8
        .value_kind:     hidden_global_offset_x
      - .offset:         208
        .size:           8
        .value_kind:     hidden_global_offset_y
      - .offset:         216
        .size:           8
        .value_kind:     hidden_global_offset_z
      - .offset:         224
        .size:           2
        .value_kind:     hidden_grid_dims
    .group_segment_fixed_size: 0
    .kernarg_segment_align: 8
    .kernarg_segment_size: 416
    .language:       OpenCL C
    .language_version:
      - 2
      - 0
    .max_flat_workgroup_size: 1024
    .name:           _ZN9rocsolver6v33100L11gemm_kernelI19rocblas_complex_numIdEiS3_PS3_PKS4_S4_EEvT0_S7_S7_T1_bT2_lS7_S7_lbT3_lS7_S7_lS8_T4_lS7_S7_l
    .private_segment_fixed_size: 0
    .sgpr_count:     28
    .sgpr_spill_count: 0
    .symbol:         _ZN9rocsolver6v33100L11gemm_kernelI19rocblas_complex_numIdEiS3_PS3_PKS4_S4_EEvT0_S7_S7_T1_bT2_lS7_S7_lbT3_lS7_S7_lS8_T4_lS7_S7_l.kd
    .uniform_work_group_size: 1
    .uses_dynamic_stack: false
    .vgpr_count:     22
    .vgpr_spill_count: 0
    .wavefront_size: 64
  - .args:
      - .offset:         0
        .size:           4
        .value_kind:     by_value
      - .offset:         4
        .size:           4
        .value_kind:     by_value
      - .offset:         8
        .size:           4
        .value_kind:     by_value
      - .offset:         12
        .size:           4
        .value_kind:     by_value
      - .offset:         16
        .size:           4
        .value_kind:     by_value
      - .address_space:  global
        .offset:         24
        .size:           8
        .value_kind:     global_buffer
      - .address_space:  global
        .offset:         32
        .size:           8
        .value_kind:     global_buffer
      - .offset:         40
        .size:           8
        .value_kind:     by_value
      - .offset:         48
        .size:           4
        .value_kind:     by_value
      - .offset:         52
        .size:           4
        .value_kind:     by_value
      - .offset:         56
        .size:           8
        .value_kind:     by_value
      - .address_space:  global
        .offset:         64
        .size:           8
        .value_kind:     global_buffer
      - .offset:         72
        .size:           8
        .value_kind:     by_value
      - .offset:         80
        .size:           4
        .value_kind:     by_value
      - .offset:         84
        .size:           4
        .value_kind:     by_value
      - .offset:         88
        .size:           8
        .value_kind:     by_value
      - .address_space:  global
        .offset:         96
        .size:           8
        .value_kind:     global_buffer
      - .address_space:  global
        .offset:         104
        .size:           8
        .value_kind:     global_buffer
      - .offset:         112
        .size:           8
        .value_kind:     by_value
      - .offset:         120
        .size:           4
        .value_kind:     by_value
      - .offset:         124
        .size:           4
        .value_kind:     by_value
      - .offset:         128
        .size:           8
        .value_kind:     by_value
    .group_segment_fixed_size: 0
    .kernarg_segment_align: 8
    .kernarg_segment_size: 136
    .language:       OpenCL C
    .language_version:
      - 2
      - 0
    .max_flat_workgroup_size: 1024
    .name:           _ZN9rocsolver6v33100L16mfma_gemm_kernelI19rocblas_complex_numIdEiPKS3_PS3_S6_PKS6_EEv18rocblas_operation_S9_T0_SA_SA_T1_T2_lSA_SA_lT3_lSA_SA_lSB_T4_lSA_SA_l
    .private_segment_fixed_size: 0
    .sgpr_count:     4
    .sgpr_spill_count: 0
    .symbol:         _ZN9rocsolver6v33100L16mfma_gemm_kernelI19rocblas_complex_numIdEiPKS3_PS3_S6_PKS6_EEv18rocblas_operation_S9_T0_SA_SA_T1_T2_lSA_SA_lT3_lSA_SA_lSB_T4_lSA_SA_l.kd
    .uniform_work_group_size: 1
    .uses_dynamic_stack: false
    .vgpr_count:     0
    .vgpr_spill_count: 0
    .wavefront_size: 64
  - .args:
      - .offset:         0
        .size:           4
        .value_kind:     by_value
      - .offset:         4
        .size:           4
        .value_kind:     by_value
      - .offset:         8
        .size:           4
        .value_kind:     by_value
      - .offset:         12
        .size:           4
        .value_kind:     by_value
      - .offset:         16
        .size:           4
        .value_kind:     by_value
      - .offset:         24
        .size:           16
        .value_kind:     by_value
      - .address_space:  global
        .offset:         40
        .size:           8
        .value_kind:     global_buffer
      - .offset:         48
        .size:           8
        .value_kind:     by_value
      - .offset:         56
        .size:           4
        .value_kind:     by_value
      - .offset:         60
        .size:           4
        .value_kind:     by_value
      - .offset:         64
        .size:           8
        .value_kind:     by_value
      - .address_space:  global
        .offset:         72
        .size:           8
        .value_kind:     global_buffer
      - .offset:         80
        .size:           8
        .value_kind:     by_value
      - .offset:         88
        .size:           4
        .value_kind:     by_value
      - .offset:         92
        .size:           4
        .value_kind:     by_value
      - .offset:         96
        .size:           8
        .value_kind:     by_value
      - .offset:         104
        .size:           16
        .value_kind:     by_value
      - .address_space:  global
        .offset:         120
        .size:           8
        .value_kind:     global_buffer
      - .offset:         128
        .size:           8
        .value_kind:     by_value
      - .offset:         136
        .size:           4
        .value_kind:     by_value
      - .offset:         140
        .size:           4
        .value_kind:     by_value
      - .offset:         144
        .size:           8
        .value_kind:     by_value
    .group_segment_fixed_size: 0
    .kernarg_segment_align: 8
    .kernarg_segment_size: 152
    .language:       OpenCL C
    .language_version:
      - 2
      - 0
    .max_flat_workgroup_size: 1024
    .name:           _ZN9rocsolver6v33100L16mfma_gemm_kernelI19rocblas_complex_numIdEiS3_PS3_S4_PKS4_EEv18rocblas_operation_S7_T0_S8_S8_T1_T2_lS8_S8_lT3_lS8_S8_lS9_T4_lS8_S8_l
    .private_segment_fixed_size: 0
    .sgpr_count:     4
    .sgpr_spill_count: 0
    .symbol:         _ZN9rocsolver6v33100L16mfma_gemm_kernelI19rocblas_complex_numIdEiS3_PS3_S4_PKS4_EEv18rocblas_operation_S7_T0_S8_S8_T1_T2_lS8_S8_lT3_lS8_S8_lS9_T4_lS8_S8_l.kd
    .uniform_work_group_size: 1
    .uses_dynamic_stack: false
    .vgpr_count:     0
    .vgpr_spill_count: 0
    .wavefront_size: 64
  - .args:
      - .offset:         0
        .size:           4
        .value_kind:     by_value
      - .offset:         4
        .size:           4
        .value_kind:     by_value
      - .offset:         8
        .size:           4
        .value_kind:     by_value
      - .address_space:  global
        .offset:         16
        .size:           8
        .value_kind:     global_buffer
      - .offset:         24
        .size:           1
        .value_kind:     by_value
      - .address_space:  global
        .offset:         32
        .size:           8
        .value_kind:     global_buffer
      - .offset:         40
        .size:           8
        .value_kind:     by_value
      - .offset:         48
        .size:           4
        .value_kind:     by_value
      - .offset:         52
        .size:           4
        .value_kind:     by_value
      - .offset:         56
        .size:           8
        .value_kind:     by_value
      - .offset:         64
        .size:           1
        .value_kind:     by_value
      - .address_space:  global
        .offset:         72
        .size:           8
        .value_kind:     global_buffer
      - .offset:         80
        .size:           8
        .value_kind:     by_value
      - .offset:         88
        .size:           4
        .value_kind:     by_value
      - .offset:         92
        .size:           4
        .value_kind:     by_value
      - .offset:         96
        .size:           8
        .value_kind:     by_value
      - .address_space:  global
        .offset:         104
        .size:           8
        .value_kind:     global_buffer
      - .address_space:  global
        .offset:         112
        .size:           8
        .value_kind:     global_buffer
      - .offset:         120
        .size:           8
        .value_kind:     by_value
      - .offset:         128
        .size:           4
        .value_kind:     by_value
      - .offset:         132
        .size:           4
        .value_kind:     by_value
      - .offset:         136
        .size:           8
        .value_kind:     by_value
      - .offset:         144
        .size:           4
        .value_kind:     hidden_block_count_x
      - .offset:         148
        .size:           4
        .value_kind:     hidden_block_count_y
      - .offset:         152
        .size:           4
        .value_kind:     hidden_block_count_z
      - .offset:         156
        .size:           2
        .value_kind:     hidden_group_size_x
      - .offset:         158
        .size:           2
        .value_kind:     hidden_group_size_y
      - .offset:         160
        .size:           2
        .value_kind:     hidden_group_size_z
      - .offset:         162
        .size:           2
        .value_kind:     hidden_remainder_x
      - .offset:         164
        .size:           2
        .value_kind:     hidden_remainder_y
      - .offset:         166
        .size:           2
        .value_kind:     hidden_remainder_z
      - .offset:         184
        .size:           8
        .value_kind:     hidden_global_offset_x
      - .offset:         192
        .size:           8
        .value_kind:     hidden_global_offset_y
      - .offset:         200
        .size:           8
        .value_kind:     hidden_global_offset_z
      - .offset:         208
        .size:           2
        .value_kind:     hidden_grid_dims
    .group_segment_fixed_size: 0
    .kernarg_segment_align: 8
    .kernarg_segment_size: 400
    .language:       OpenCL C
    .language_version:
      - 2
      - 0
    .max_flat_workgroup_size: 1024
    .name:           _ZN9rocsolver6v33100L11gemm_kernelI19rocblas_complex_numIdEiPKS3_PS3_S6_PKS6_EEvT0_S9_S9_T1_bT2_lS9_S9_lbT3_lS9_S9_lSA_T4_lS9_S9_l
    .private_segment_fixed_size: 0
    .sgpr_count:     44
    .sgpr_spill_count: 0
    .symbol:         _ZN9rocsolver6v33100L11gemm_kernelI19rocblas_complex_numIdEiPKS3_PS3_S6_PKS6_EEvT0_S9_S9_T1_bT2_lS9_S9_lbT3_lS9_S9_lSA_T4_lS9_S9_l.kd
    .uniform_work_group_size: 1
    .uses_dynamic_stack: false
    .vgpr_count:     22
    .vgpr_spill_count: 0
    .wavefront_size: 64
  - .args:
      - .offset:         0
        .size:           4
        .value_kind:     by_value
      - .offset:         4
        .size:           4
        .value_kind:     by_value
      - .offset:         8
        .size:           4
        .value_kind:     by_value
      - .offset:         16
        .size:           16
        .value_kind:     by_value
      - .offset:         32
        .size:           1
        .value_kind:     by_value
      - .address_space:  global
        .offset:         40
        .size:           8
        .value_kind:     global_buffer
      - .offset:         48
        .size:           8
        .value_kind:     by_value
      - .offset:         56
        .size:           4
        .value_kind:     by_value
      - .offset:         60
        .size:           4
        .value_kind:     by_value
      - .offset:         64
        .size:           8
        .value_kind:     by_value
      - .offset:         72
        .size:           1
        .value_kind:     by_value
      - .address_space:  global
        .offset:         80
        .size:           8
        .value_kind:     global_buffer
      - .offset:         88
        .size:           8
        .value_kind:     by_value
      - .offset:         96
        .size:           4
        .value_kind:     by_value
      - .offset:         100
        .size:           4
        .value_kind:     by_value
      - .offset:         104
        .size:           8
        .value_kind:     by_value
      - .offset:         112
        .size:           16
        .value_kind:     by_value
      - .address_space:  global
        .offset:         128
        .size:           8
        .value_kind:     global_buffer
      - .offset:         136
        .size:           8
        .value_kind:     by_value
      - .offset:         144
        .size:           4
        .value_kind:     by_value
      - .offset:         148
        .size:           4
        .value_kind:     by_value
      - .offset:         152
        .size:           8
        .value_kind:     by_value
      - .offset:         160
        .size:           4
        .value_kind:     hidden_block_count_x
      - .offset:         164
        .size:           4
        .value_kind:     hidden_block_count_y
      - .offset:         168
        .size:           4
        .value_kind:     hidden_block_count_z
      - .offset:         172
        .size:           2
        .value_kind:     hidden_group_size_x
      - .offset:         174
        .size:           2
        .value_kind:     hidden_group_size_y
      - .offset:         176
        .size:           2
        .value_kind:     hidden_group_size_z
      - .offset:         178
        .size:           2
        .value_kind:     hidden_remainder_x
      - .offset:         180
        .size:           2
        .value_kind:     hidden_remainder_y
      - .offset:         182
        .size:           2
        .value_kind:     hidden_remainder_z
      - .offset:         200
        .size:           8
        .value_kind:     hidden_global_offset_x
      - .offset:         208
        .size:           8
        .value_kind:     hidden_global_offset_y
      - .offset:         216
        .size:           8
        .value_kind:     hidden_global_offset_z
      - .offset:         224
        .size:           2
        .value_kind:     hidden_grid_dims
    .group_segment_fixed_size: 0
    .kernarg_segment_align: 8
    .kernarg_segment_size: 416
    .language:       OpenCL C
    .language_version:
      - 2
      - 0
    .max_flat_workgroup_size: 1024
    .name:           _ZN9rocsolver6v33100L11gemm_kernelI19rocblas_complex_numIdEiS3_PS3_S4_PKS4_EEvT0_S7_S7_T1_bT2_lS7_S7_lbT3_lS7_S7_lS8_T4_lS7_S7_l
    .private_segment_fixed_size: 0
    .sgpr_count:     44
    .sgpr_spill_count: 0
    .symbol:         _ZN9rocsolver6v33100L11gemm_kernelI19rocblas_complex_numIdEiS3_PS3_S4_PKS4_EEvT0_S7_S7_T1_bT2_lS7_S7_lbT3_lS7_S7_lS8_T4_lS7_S7_l.kd
    .uniform_work_group_size: 1
    .uses_dynamic_stack: false
    .vgpr_count:     22
    .vgpr_spill_count: 0
    .wavefront_size: 64
  - .args:
      - .offset:         0
        .size:           4
        .value_kind:     by_value
      - .offset:         4
        .size:           4
        .value_kind:     by_value
      - .offset:         8
        .size:           8
        .value_kind:     by_value
      - .offset:         16
        .size:           8
        .value_kind:     by_value
      - .offset:         24
        .size:           8
        .value_kind:     by_value
      - .address_space:  global
        .offset:         32
        .size:           8
        .value_kind:     global_buffer
      - .address_space:  global
        .offset:         40
        .size:           8
        .value_kind:     global_buffer
      - .offset:         48
        .size:           8
        .value_kind:     by_value
      - .offset:         56
        .size:           8
        .value_kind:     by_value
      - .offset:         64
        .size:           8
        .value_kind:     by_value
      - .offset:         72
        .size:           8
        .value_kind:     by_value
      - .address_space:  global
        .offset:         80
        .size:           8
        .value_kind:     global_buffer
      - .offset:         88
        .size:           8
        .value_kind:     by_value
      - .offset:         96
        .size:           8
        .value_kind:     by_value
      - .offset:         104
        .size:           8
        .value_kind:     by_value
      - .offset:         112
        .size:           8
        .value_kind:     by_value
      - .address_space:  global
        .offset:         120
        .size:           8
        .value_kind:     global_buffer
      - .address_space:  global
        .offset:         128
        .size:           8
        .value_kind:     global_buffer
      - .offset:         136
        .size:           8
        .value_kind:     by_value
      - .offset:         144
        .size:           8
        .value_kind:     by_value
      - .offset:         152
        .size:           8
        .value_kind:     by_value
      - .offset:         160
        .size:           8
        .value_kind:     by_value
    .group_segment_fixed_size: 0
    .kernarg_segment_align: 8
    .kernarg_segment_size: 168
    .language:       OpenCL C
    .language_version:
      - 2
      - 0
    .max_flat_workgroup_size: 1024
    .name:           _ZN9rocsolver6v33100L16mfma_gemm_kernelI19rocblas_complex_numIdElPKS3_PS3_S6_S6_EEv18rocblas_operation_S7_T0_S8_S8_T1_T2_lS8_S8_lT3_lS8_S8_lS9_T4_lS8_S8_l
    .private_segment_fixed_size: 0
    .sgpr_count:     4
    .sgpr_spill_count: 0
    .symbol:         _ZN9rocsolver6v33100L16mfma_gemm_kernelI19rocblas_complex_numIdElPKS3_PS3_S6_S6_EEv18rocblas_operation_S7_T0_S8_S8_T1_T2_lS8_S8_lT3_lS8_S8_lS9_T4_lS8_S8_l.kd
    .uniform_work_group_size: 1
    .uses_dynamic_stack: false
    .vgpr_count:     0
    .vgpr_spill_count: 0
    .wavefront_size: 64
  - .args:
      - .offset:         0
        .size:           4
        .value_kind:     by_value
      - .offset:         4
        .size:           4
        .value_kind:     by_value
      - .offset:         8
        .size:           8
        .value_kind:     by_value
      - .offset:         16
        .size:           8
        .value_kind:     by_value
      - .offset:         24
        .size:           8
        .value_kind:     by_value
      - .offset:         32
        .size:           16
        .value_kind:     by_value
      - .address_space:  global
        .offset:         48
        .size:           8
        .value_kind:     global_buffer
      - .offset:         56
        .size:           8
        .value_kind:     by_value
      - .offset:         64
        .size:           8
        .value_kind:     by_value
      - .offset:         72
        .size:           8
        .value_kind:     by_value
      - .offset:         80
        .size:           8
        .value_kind:     by_value
      - .address_space:  global
        .offset:         88
        .size:           8
        .value_kind:     global_buffer
      - .offset:         96
        .size:           8
        .value_kind:     by_value
      - .offset:         104
        .size:           8
        .value_kind:     by_value
      - .offset:         112
        .size:           8
        .value_kind:     by_value
      - .offset:         120
        .size:           8
        .value_kind:     by_value
      - .offset:         128
        .size:           16
        .value_kind:     by_value
      - .address_space:  global
        .offset:         144
        .size:           8
        .value_kind:     global_buffer
      - .offset:         152
        .size:           8
        .value_kind:     by_value
      - .offset:         160
        .size:           8
        .value_kind:     by_value
      - .offset:         168
        .size:           8
        .value_kind:     by_value
      - .offset:         176
        .size:           8
        .value_kind:     by_value
    .group_segment_fixed_size: 0
    .kernarg_segment_align: 8
    .kernarg_segment_size: 184
    .language:       OpenCL C
    .language_version:
      - 2
      - 0
    .max_flat_workgroup_size: 1024
    .name:           _ZN9rocsolver6v33100L16mfma_gemm_kernelI19rocblas_complex_numIdElS3_PS3_S4_S4_EEv18rocblas_operation_S5_T0_S6_S6_T1_T2_lS6_S6_lT3_lS6_S6_lS7_T4_lS6_S6_l
    .private_segment_fixed_size: 0
    .sgpr_count:     4
    .sgpr_spill_count: 0
    .symbol:         _ZN9rocsolver6v33100L16mfma_gemm_kernelI19rocblas_complex_numIdElS3_PS3_S4_S4_EEv18rocblas_operation_S5_T0_S6_S6_T1_T2_lS6_S6_lT3_lS6_S6_lS7_T4_lS6_S6_l.kd
    .uniform_work_group_size: 1
    .uses_dynamic_stack: false
    .vgpr_count:     0
    .vgpr_spill_count: 0
    .wavefront_size: 64
  - .args:
      - .offset:         0
        .size:           8
        .value_kind:     by_value
      - .offset:         8
        .size:           8
        .value_kind:     by_value
      - .offset:         16
        .size:           8
        .value_kind:     by_value
      - .address_space:  global
        .offset:         24
        .size:           8
        .value_kind:     global_buffer
      - .offset:         32
        .size:           1
        .value_kind:     by_value
      - .address_space:  global
        .offset:         40
        .size:           8
        .value_kind:     global_buffer
      - .offset:         48
        .size:           8
        .value_kind:     by_value
      - .offset:         56
        .size:           8
        .value_kind:     by_value
      - .offset:         64
        .size:           8
        .value_kind:     by_value
      - .offset:         72
        .size:           8
        .value_kind:     by_value
      - .offset:         80
        .size:           1
        .value_kind:     by_value
      - .address_space:  global
        .offset:         88
        .size:           8
        .value_kind:     global_buffer
      - .offset:         96
        .size:           8
        .value_kind:     by_value
      - .offset:         104
        .size:           8
        .value_kind:     by_value
      - .offset:         112
        .size:           8
        .value_kind:     by_value
      - .offset:         120
        .size:           8
        .value_kind:     by_value
      - .address_space:  global
        .offset:         128
        .size:           8
        .value_kind:     global_buffer
      - .address_space:  global
        .offset:         136
        .size:           8
        .value_kind:     global_buffer
      - .offset:         144
        .size:           8
        .value_kind:     by_value
      - .offset:         152
        .size:           8
        .value_kind:     by_value
      - .offset:         160
        .size:           8
        .value_kind:     by_value
      - .offset:         168
        .size:           8
        .value_kind:     by_value
      - .offset:         176
        .size:           4
        .value_kind:     hidden_block_count_x
      - .offset:         180
        .size:           4
        .value_kind:     hidden_block_count_y
      - .offset:         184
        .size:           4
        .value_kind:     hidden_block_count_z
      - .offset:         188
        .size:           2
        .value_kind:     hidden_group_size_x
      - .offset:         190
        .size:           2
        .value_kind:     hidden_group_size_y
      - .offset:         192
        .size:           2
        .value_kind:     hidden_group_size_z
      - .offset:         194
        .size:           2
        .value_kind:     hidden_remainder_x
      - .offset:         196
        .size:           2
        .value_kind:     hidden_remainder_y
      - .offset:         198
        .size:           2
        .value_kind:     hidden_remainder_z
      - .offset:         216
        .size:           8
        .value_kind:     hidden_global_offset_x
      - .offset:         224
        .size:           8
        .value_kind:     hidden_global_offset_y
      - .offset:         232
        .size:           8
        .value_kind:     hidden_global_offset_z
      - .offset:         240
        .size:           2
        .value_kind:     hidden_grid_dims
    .group_segment_fixed_size: 0
    .kernarg_segment_align: 8
    .kernarg_segment_size: 432
    .language:       OpenCL C
    .language_version:
      - 2
      - 0
    .max_flat_workgroup_size: 1024
    .name:           _ZN9rocsolver6v33100L11gemm_kernelI19rocblas_complex_numIdElPKS3_PS3_S6_S6_EEvT0_S7_S7_T1_bT2_lS7_S7_lbT3_lS7_S7_lS8_T4_lS7_S7_l
    .private_segment_fixed_size: 0
    .sgpr_count:     48
    .sgpr_spill_count: 0
    .symbol:         _ZN9rocsolver6v33100L11gemm_kernelI19rocblas_complex_numIdElPKS3_PS3_S6_S6_EEvT0_S7_S7_T1_bT2_lS7_S7_lbT3_lS7_S7_lS8_T4_lS7_S7_l.kd
    .uniform_work_group_size: 1
    .uses_dynamic_stack: false
    .vgpr_count:     24
    .vgpr_spill_count: 0
    .wavefront_size: 64
  - .args:
      - .offset:         0
        .size:           8
        .value_kind:     by_value
      - .offset:         8
        .size:           8
        .value_kind:     by_value
      - .offset:         16
        .size:           8
        .value_kind:     by_value
      - .offset:         24
        .size:           16
        .value_kind:     by_value
      - .offset:         40
        .size:           1
        .value_kind:     by_value
      - .address_space:  global
        .offset:         48
        .size:           8
        .value_kind:     global_buffer
      - .offset:         56
        .size:           8
        .value_kind:     by_value
      - .offset:         64
        .size:           8
        .value_kind:     by_value
      - .offset:         72
        .size:           8
        .value_kind:     by_value
      - .offset:         80
        .size:           8
        .value_kind:     by_value
      - .offset:         88
        .size:           1
        .value_kind:     by_value
      - .address_space:  global
        .offset:         96
        .size:           8
        .value_kind:     global_buffer
      - .offset:         104
        .size:           8
        .value_kind:     by_value
      - .offset:         112
        .size:           8
        .value_kind:     by_value
      - .offset:         120
        .size:           8
        .value_kind:     by_value
      - .offset:         128
        .size:           8
        .value_kind:     by_value
      - .offset:         136
        .size:           16
        .value_kind:     by_value
      - .address_space:  global
        .offset:         152
        .size:           8
        .value_kind:     global_buffer
      - .offset:         160
        .size:           8
        .value_kind:     by_value
      - .offset:         168
        .size:           8
        .value_kind:     by_value
      - .offset:         176
        .size:           8
        .value_kind:     by_value
      - .offset:         184
        .size:           8
        .value_kind:     by_value
      - .offset:         192
        .size:           4
        .value_kind:     hidden_block_count_x
      - .offset:         196
        .size:           4
        .value_kind:     hidden_block_count_y
      - .offset:         200
        .size:           4
        .value_kind:     hidden_block_count_z
      - .offset:         204
        .size:           2
        .value_kind:     hidden_group_size_x
      - .offset:         206
        .size:           2
        .value_kind:     hidden_group_size_y
      - .offset:         208
        .size:           2
        .value_kind:     hidden_group_size_z
      - .offset:         210
        .size:           2
        .value_kind:     hidden_remainder_x
      - .offset:         212
        .size:           2
        .value_kind:     hidden_remainder_y
      - .offset:         214
        .size:           2
        .value_kind:     hidden_remainder_z
      - .offset:         232
        .size:           8
        .value_kind:     hidden_global_offset_x
      - .offset:         240
        .size:           8
        .value_kind:     hidden_global_offset_y
      - .offset:         248
        .size:           8
        .value_kind:     hidden_global_offset_z
      - .offset:         256
        .size:           2
        .value_kind:     hidden_grid_dims
    .group_segment_fixed_size: 0
    .kernarg_segment_align: 8
    .kernarg_segment_size: 448
    .language:       OpenCL C
    .language_version:
      - 2
      - 0
    .max_flat_workgroup_size: 1024
    .name:           _ZN9rocsolver6v33100L11gemm_kernelI19rocblas_complex_numIdElS3_PS3_S4_S4_EEvT0_S5_S5_T1_bT2_lS5_S5_lbT3_lS5_S5_lS6_T4_lS5_S5_l
    .private_segment_fixed_size: 0
    .sgpr_count:     48
    .sgpr_spill_count: 0
    .symbol:         _ZN9rocsolver6v33100L11gemm_kernelI19rocblas_complex_numIdElS3_PS3_S4_S4_EEvT0_S5_S5_T1_bT2_lS5_S5_lbT3_lS5_S5_lS6_T4_lS5_S5_l.kd
    .uniform_work_group_size: 1
    .uses_dynamic_stack: false
    .vgpr_count:     24
    .vgpr_spill_count: 0
    .wavefront_size: 64
  - .args:
      - .offset:         0
        .size:           4
        .value_kind:     by_value
      - .offset:         4
        .size:           4
        .value_kind:     by_value
      - .offset:         8
        .size:           8
        .value_kind:     by_value
      - .offset:         16
        .size:           8
        .value_kind:     by_value
      - .offset:         24
        .size:           8
        .value_kind:     by_value
      - .address_space:  global
        .offset:         32
        .size:           8
        .value_kind:     global_buffer
      - .address_space:  global
        .offset:         40
        .size:           8
        .value_kind:     global_buffer
      - .offset:         48
        .size:           8
        .value_kind:     by_value
      - .offset:         56
        .size:           8
        .value_kind:     by_value
      - .offset:         64
        .size:           8
        .value_kind:     by_value
      - .offset:         72
        .size:           8
        .value_kind:     by_value
      - .address_space:  global
        .offset:         80
        .size:           8
        .value_kind:     global_buffer
      - .offset:         88
        .size:           8
        .value_kind:     by_value
      - .offset:         96
        .size:           8
        .value_kind:     by_value
      - .offset:         104
        .size:           8
        .value_kind:     by_value
      - .offset:         112
        .size:           8
        .value_kind:     by_value
      - .address_space:  global
        .offset:         120
        .size:           8
        .value_kind:     global_buffer
      - .address_space:  global
        .offset:         128
        .size:           8
        .value_kind:     global_buffer
      - .offset:         136
        .size:           8
        .value_kind:     by_value
      - .offset:         144
        .size:           8
        .value_kind:     by_value
      - .offset:         152
        .size:           8
        .value_kind:     by_value
      - .offset:         160
        .size:           8
        .value_kind:     by_value
    .group_segment_fixed_size: 0
    .kernarg_segment_align: 8
    .kernarg_segment_size: 168
    .language:       OpenCL C
    .language_version:
      - 2
      - 0
    .max_flat_workgroup_size: 1024
    .name:           _ZN9rocsolver6v33100L16mfma_gemm_kernelI19rocblas_complex_numIdElPKS3_PKPS3_S8_S8_EEv18rocblas_operation_S9_T0_SA_SA_T1_T2_lSA_SA_lT3_lSA_SA_lSB_T4_lSA_SA_l
    .private_segment_fixed_size: 0
    .sgpr_count:     4
    .sgpr_spill_count: 0
    .symbol:         _ZN9rocsolver6v33100L16mfma_gemm_kernelI19rocblas_complex_numIdElPKS3_PKPS3_S8_S8_EEv18rocblas_operation_S9_T0_SA_SA_T1_T2_lSA_SA_lT3_lSA_SA_lSB_T4_lSA_SA_l.kd
    .uniform_work_group_size: 1
    .uses_dynamic_stack: false
    .vgpr_count:     0
    .vgpr_spill_count: 0
    .wavefront_size: 64
  - .args:
      - .offset:         0
        .size:           4
        .value_kind:     by_value
      - .offset:         4
        .size:           4
        .value_kind:     by_value
      - .offset:         8
        .size:           8
        .value_kind:     by_value
      - .offset:         16
        .size:           8
        .value_kind:     by_value
      - .offset:         24
        .size:           8
        .value_kind:     by_value
      - .offset:         32
        .size:           16
        .value_kind:     by_value
      - .address_space:  global
        .offset:         48
        .size:           8
        .value_kind:     global_buffer
      - .offset:         56
        .size:           8
        .value_kind:     by_value
      - .offset:         64
        .size:           8
        .value_kind:     by_value
      - .offset:         72
        .size:           8
        .value_kind:     by_value
      - .offset:         80
        .size:           8
        .value_kind:     by_value
      - .address_space:  global
        .offset:         88
        .size:           8
        .value_kind:     global_buffer
      - .offset:         96
        .size:           8
        .value_kind:     by_value
      - .offset:         104
        .size:           8
        .value_kind:     by_value
      - .offset:         112
        .size:           8
        .value_kind:     by_value
      - .offset:         120
        .size:           8
        .value_kind:     by_value
      - .offset:         128
        .size:           16
        .value_kind:     by_value
      - .address_space:  global
        .offset:         144
        .size:           8
        .value_kind:     global_buffer
      - .offset:         152
        .size:           8
        .value_kind:     by_value
      - .offset:         160
        .size:           8
        .value_kind:     by_value
      - .offset:         168
        .size:           8
        .value_kind:     by_value
      - .offset:         176
        .size:           8
        .value_kind:     by_value
    .group_segment_fixed_size: 0
    .kernarg_segment_align: 8
    .kernarg_segment_size: 184
    .language:       OpenCL C
    .language_version:
      - 2
      - 0
    .max_flat_workgroup_size: 1024
    .name:           _ZN9rocsolver6v33100L16mfma_gemm_kernelI19rocblas_complex_numIdElS3_PKPS3_S6_S6_EEv18rocblas_operation_S7_T0_S8_S8_T1_T2_lS8_S8_lT3_lS8_S8_lS9_T4_lS8_S8_l
    .private_segment_fixed_size: 0
    .sgpr_count:     4
    .sgpr_spill_count: 0
    .symbol:         _ZN9rocsolver6v33100L16mfma_gemm_kernelI19rocblas_complex_numIdElS3_PKPS3_S6_S6_EEv18rocblas_operation_S7_T0_S8_S8_T1_T2_lS8_S8_lT3_lS8_S8_lS9_T4_lS8_S8_l.kd
    .uniform_work_group_size: 1
    .uses_dynamic_stack: false
    .vgpr_count:     0
    .vgpr_spill_count: 0
    .wavefront_size: 64
  - .args:
      - .offset:         0
        .size:           8
        .value_kind:     by_value
      - .offset:         8
        .size:           8
        .value_kind:     by_value
      - .offset:         16
        .size:           8
        .value_kind:     by_value
      - .address_space:  global
        .offset:         24
        .size:           8
        .value_kind:     global_buffer
      - .offset:         32
        .size:           1
        .value_kind:     by_value
      - .address_space:  global
        .offset:         40
        .size:           8
        .value_kind:     global_buffer
      - .offset:         48
        .size:           8
        .value_kind:     by_value
      - .offset:         56
        .size:           8
        .value_kind:     by_value
      - .offset:         64
        .size:           8
        .value_kind:     by_value
      - .offset:         72
        .size:           8
        .value_kind:     by_value
      - .offset:         80
        .size:           1
        .value_kind:     by_value
      - .address_space:  global
        .offset:         88
        .size:           8
        .value_kind:     global_buffer
      - .offset:         96
        .size:           8
        .value_kind:     by_value
      - .offset:         104
        .size:           8
        .value_kind:     by_value
      - .offset:         112
        .size:           8
        .value_kind:     by_value
      - .offset:         120
        .size:           8
        .value_kind:     by_value
      - .address_space:  global
        .offset:         128
        .size:           8
        .value_kind:     global_buffer
      - .address_space:  global
        .offset:         136
        .size:           8
        .value_kind:     global_buffer
      - .offset:         144
        .size:           8
        .value_kind:     by_value
      - .offset:         152
        .size:           8
        .value_kind:     by_value
      - .offset:         160
        .size:           8
        .value_kind:     by_value
      - .offset:         168
        .size:           8
        .value_kind:     by_value
      - .offset:         176
        .size:           4
        .value_kind:     hidden_block_count_x
      - .offset:         180
        .size:           4
        .value_kind:     hidden_block_count_y
      - .offset:         184
        .size:           4
        .value_kind:     hidden_block_count_z
      - .offset:         188
        .size:           2
        .value_kind:     hidden_group_size_x
      - .offset:         190
        .size:           2
        .value_kind:     hidden_group_size_y
      - .offset:         192
        .size:           2
        .value_kind:     hidden_group_size_z
      - .offset:         194
        .size:           2
        .value_kind:     hidden_remainder_x
      - .offset:         196
        .size:           2
        .value_kind:     hidden_remainder_y
      - .offset:         198
        .size:           2
        .value_kind:     hidden_remainder_z
      - .offset:         216
        .size:           8
        .value_kind:     hidden_global_offset_x
      - .offset:         224
        .size:           8
        .value_kind:     hidden_global_offset_y
      - .offset:         232
        .size:           8
        .value_kind:     hidden_global_offset_z
      - .offset:         240
        .size:           2
        .value_kind:     hidden_grid_dims
    .group_segment_fixed_size: 0
    .kernarg_segment_align: 8
    .kernarg_segment_size: 432
    .language:       OpenCL C
    .language_version:
      - 2
      - 0
    .max_flat_workgroup_size: 1024
    .name:           _ZN9rocsolver6v33100L11gemm_kernelI19rocblas_complex_numIdElPKS3_PKPS3_S8_S8_EEvT0_S9_S9_T1_bT2_lS9_S9_lbT3_lS9_S9_lSA_T4_lS9_S9_l
    .private_segment_fixed_size: 0
    .sgpr_count:     48
    .sgpr_spill_count: 0
    .symbol:         _ZN9rocsolver6v33100L11gemm_kernelI19rocblas_complex_numIdElPKS3_PKPS3_S8_S8_EEvT0_S9_S9_T1_bT2_lS9_S9_lbT3_lS9_S9_lSA_T4_lS9_S9_l.kd
    .uniform_work_group_size: 1
    .uses_dynamic_stack: false
    .vgpr_count:     24
    .vgpr_spill_count: 0
    .wavefront_size: 64
  - .args:
      - .offset:         0
        .size:           8
        .value_kind:     by_value
      - .offset:         8
        .size:           8
        .value_kind:     by_value
      - .offset:         16
        .size:           8
        .value_kind:     by_value
      - .offset:         24
        .size:           16
        .value_kind:     by_value
      - .offset:         40
        .size:           1
        .value_kind:     by_value
      - .address_space:  global
        .offset:         48
        .size:           8
        .value_kind:     global_buffer
      - .offset:         56
        .size:           8
        .value_kind:     by_value
      - .offset:         64
        .size:           8
        .value_kind:     by_value
      - .offset:         72
        .size:           8
        .value_kind:     by_value
      - .offset:         80
        .size:           8
        .value_kind:     by_value
      - .offset:         88
        .size:           1
        .value_kind:     by_value
      - .address_space:  global
        .offset:         96
        .size:           8
        .value_kind:     global_buffer
      - .offset:         104
        .size:           8
        .value_kind:     by_value
      - .offset:         112
        .size:           8
        .value_kind:     by_value
      - .offset:         120
        .size:           8
        .value_kind:     by_value
      - .offset:         128
        .size:           8
        .value_kind:     by_value
      - .offset:         136
        .size:           16
        .value_kind:     by_value
      - .address_space:  global
        .offset:         152
        .size:           8
        .value_kind:     global_buffer
      - .offset:         160
        .size:           8
        .value_kind:     by_value
      - .offset:         168
        .size:           8
        .value_kind:     by_value
      - .offset:         176
        .size:           8
        .value_kind:     by_value
      - .offset:         184
        .size:           8
        .value_kind:     by_value
      - .offset:         192
        .size:           4
        .value_kind:     hidden_block_count_x
      - .offset:         196
        .size:           4
        .value_kind:     hidden_block_count_y
      - .offset:         200
        .size:           4
        .value_kind:     hidden_block_count_z
      - .offset:         204
        .size:           2
        .value_kind:     hidden_group_size_x
      - .offset:         206
        .size:           2
        .value_kind:     hidden_group_size_y
      - .offset:         208
        .size:           2
        .value_kind:     hidden_group_size_z
      - .offset:         210
        .size:           2
        .value_kind:     hidden_remainder_x
      - .offset:         212
        .size:           2
        .value_kind:     hidden_remainder_y
      - .offset:         214
        .size:           2
        .value_kind:     hidden_remainder_z
      - .offset:         232
        .size:           8
        .value_kind:     hidden_global_offset_x
      - .offset:         240
        .size:           8
        .value_kind:     hidden_global_offset_y
      - .offset:         248
        .size:           8
        .value_kind:     hidden_global_offset_z
      - .offset:         256
        .size:           2
        .value_kind:     hidden_grid_dims
    .group_segment_fixed_size: 0
    .kernarg_segment_align: 8
    .kernarg_segment_size: 448
    .language:       OpenCL C
    .language_version:
      - 2
      - 0
    .max_flat_workgroup_size: 1024
    .name:           _ZN9rocsolver6v33100L11gemm_kernelI19rocblas_complex_numIdElS3_PKPS3_S6_S6_EEvT0_S7_S7_T1_bT2_lS7_S7_lbT3_lS7_S7_lS8_T4_lS7_S7_l
    .private_segment_fixed_size: 0
    .sgpr_count:     48
    .sgpr_spill_count: 0
    .symbol:         _ZN9rocsolver6v33100L11gemm_kernelI19rocblas_complex_numIdElS3_PKPS3_S6_S6_EEvT0_S7_S7_T1_bT2_lS7_S7_lbT3_lS7_S7_lS8_T4_lS7_S7_l.kd
    .uniform_work_group_size: 1
    .uses_dynamic_stack: false
    .vgpr_count:     24
    .vgpr_spill_count: 0
    .wavefront_size: 64
  - .args:
      - .address_space:  global
        .offset:         0
        .size:           8
        .value_kind:     global_buffer
      - .address_space:  global
        .offset:         8
        .size:           8
        .value_kind:     global_buffer
      - .offset:         16
        .size:           8
        .value_kind:     by_value
      - .offset:         24
        .size:           8
        .value_kind:     by_value
      - .offset:         32
        .size:           4
        .value_kind:     hidden_block_count_x
      - .offset:         36
        .size:           4
        .value_kind:     hidden_block_count_y
      - .offset:         40
        .size:           4
        .value_kind:     hidden_block_count_z
      - .offset:         44
        .size:           2
        .value_kind:     hidden_group_size_x
      - .offset:         46
        .size:           2
        .value_kind:     hidden_group_size_y
      - .offset:         48
        .size:           2
        .value_kind:     hidden_group_size_z
      - .offset:         50
        .size:           2
        .value_kind:     hidden_remainder_x
      - .offset:         52
        .size:           2
        .value_kind:     hidden_remainder_y
      - .offset:         54
        .size:           2
        .value_kind:     hidden_remainder_z
      - .offset:         72
        .size:           8
        .value_kind:     hidden_global_offset_x
      - .offset:         80
        .size:           8
        .value_kind:     hidden_global_offset_y
      - .offset:         88
        .size:           8
        .value_kind:     hidden_global_offset_z
      - .offset:         96
        .size:           2
        .value_kind:     hidden_grid_dims
    .group_segment_fixed_size: 0
    .kernarg_segment_align: 8
    .kernarg_segment_size: 288
    .language:       OpenCL C
    .language_version:
      - 2
      - 0
    .max_flat_workgroup_size: 1024
    .name:           _ZN9rocsolver6v33100L9get_arrayI19rocblas_complex_numIdElEEvPPT_S5_lT0_
    .private_segment_fixed_size: 0
    .sgpr_count:     20
    .sgpr_spill_count: 0
    .symbol:         _ZN9rocsolver6v33100L9get_arrayI19rocblas_complex_numIdElEEvPPT_S5_lT0_.kd
    .uniform_work_group_size: 1
    .uses_dynamic_stack: false
    .vgpr_count:     6
    .vgpr_spill_count: 0
    .wavefront_size: 64
  - .args:
      - .offset:         0
        .size:           4
        .value_kind:     by_value
      - .offset:         4
        .size:           4
        .value_kind:     by_value
      - .offset:         8
        .size:           8
        .value_kind:     by_value
      - .offset:         16
        .size:           8
        .value_kind:     by_value
      - .offset:         24
        .size:           8
        .value_kind:     by_value
      - .address_space:  global
        .offset:         32
        .size:           8
        .value_kind:     global_buffer
      - .address_space:  global
        .offset:         40
        .size:           8
        .value_kind:     global_buffer
      - .offset:         48
        .size:           8
        .value_kind:     by_value
      - .offset:         56
        .size:           8
        .value_kind:     by_value
      - .offset:         64
        .size:           8
        .value_kind:     by_value
      - .offset:         72
        .size:           8
        .value_kind:     by_value
      - .address_space:  global
        .offset:         80
        .size:           8
        .value_kind:     global_buffer
      - .offset:         88
        .size:           8
        .value_kind:     by_value
      - .offset:         96
        .size:           8
        .value_kind:     by_value
      - .offset:         104
        .size:           8
        .value_kind:     by_value
      - .offset:         112
        .size:           8
        .value_kind:     by_value
      - .address_space:  global
        .offset:         120
        .size:           8
        .value_kind:     global_buffer
      - .address_space:  global
        .offset:         128
        .size:           8
        .value_kind:     global_buffer
      - .offset:         136
        .size:           8
        .value_kind:     by_value
      - .offset:         144
        .size:           8
        .value_kind:     by_value
      - .offset:         152
        .size:           8
        .value_kind:     by_value
      - .offset:         160
        .size:           8
        .value_kind:     by_value
    .group_segment_fixed_size: 0
    .kernarg_segment_align: 8
    .kernarg_segment_size: 168
    .language:       OpenCL C
    .language_version:
      - 2
      - 0
    .max_flat_workgroup_size: 1024
    .name:           _ZN9rocsolver6v33100L16mfma_gemm_kernelI19rocblas_complex_numIdElPKS3_PS3_PKS6_S8_EEv18rocblas_operation_S9_T0_SA_SA_T1_T2_lSA_SA_lT3_lSA_SA_lSB_T4_lSA_SA_l
    .private_segment_fixed_size: 0
    .sgpr_count:     4
    .sgpr_spill_count: 0
    .symbol:         _ZN9rocsolver6v33100L16mfma_gemm_kernelI19rocblas_complex_numIdElPKS3_PS3_PKS6_S8_EEv18rocblas_operation_S9_T0_SA_SA_T1_T2_lSA_SA_lT3_lSA_SA_lSB_T4_lSA_SA_l.kd
    .uniform_work_group_size: 1
    .uses_dynamic_stack: false
    .vgpr_count:     0
    .vgpr_spill_count: 0
    .wavefront_size: 64
  - .args:
      - .offset:         0
        .size:           4
        .value_kind:     by_value
      - .offset:         4
        .size:           4
        .value_kind:     by_value
      - .offset:         8
        .size:           8
        .value_kind:     by_value
      - .offset:         16
        .size:           8
        .value_kind:     by_value
      - .offset:         24
        .size:           8
        .value_kind:     by_value
      - .offset:         32
        .size:           16
        .value_kind:     by_value
      - .address_space:  global
        .offset:         48
        .size:           8
        .value_kind:     global_buffer
      - .offset:         56
        .size:           8
        .value_kind:     by_value
      - .offset:         64
        .size:           8
        .value_kind:     by_value
      - .offset:         72
        .size:           8
        .value_kind:     by_value
      - .offset:         80
        .size:           8
        .value_kind:     by_value
      - .address_space:  global
        .offset:         88
        .size:           8
        .value_kind:     global_buffer
      - .offset:         96
        .size:           8
        .value_kind:     by_value
      - .offset:         104
        .size:           8
        .value_kind:     by_value
      - .offset:         112
        .size:           8
        .value_kind:     by_value
      - .offset:         120
        .size:           8
        .value_kind:     by_value
      - .offset:         128
        .size:           16
        .value_kind:     by_value
      - .address_space:  global
        .offset:         144
        .size:           8
        .value_kind:     global_buffer
      - .offset:         152
        .size:           8
        .value_kind:     by_value
      - .offset:         160
        .size:           8
        .value_kind:     by_value
      - .offset:         168
        .size:           8
        .value_kind:     by_value
      - .offset:         176
        .size:           8
        .value_kind:     by_value
    .group_segment_fixed_size: 0
    .kernarg_segment_align: 8
    .kernarg_segment_size: 184
    .language:       OpenCL C
    .language_version:
      - 2
      - 0
    .max_flat_workgroup_size: 1024
    .name:           _ZN9rocsolver6v33100L16mfma_gemm_kernelI19rocblas_complex_numIdElS3_PS3_PKS4_S6_EEv18rocblas_operation_S7_T0_S8_S8_T1_T2_lS8_S8_lT3_lS8_S8_lS9_T4_lS8_S8_l
    .private_segment_fixed_size: 0
    .sgpr_count:     4
    .sgpr_spill_count: 0
    .symbol:         _ZN9rocsolver6v33100L16mfma_gemm_kernelI19rocblas_complex_numIdElS3_PS3_PKS4_S6_EEv18rocblas_operation_S7_T0_S8_S8_T1_T2_lS8_S8_lT3_lS8_S8_lS9_T4_lS8_S8_l.kd
    .uniform_work_group_size: 1
    .uses_dynamic_stack: false
    .vgpr_count:     0
    .vgpr_spill_count: 0
    .wavefront_size: 64
  - .args:
      - .offset:         0
        .size:           8
        .value_kind:     by_value
      - .offset:         8
        .size:           8
        .value_kind:     by_value
      - .offset:         16
        .size:           8
        .value_kind:     by_value
      - .address_space:  global
        .offset:         24
        .size:           8
        .value_kind:     global_buffer
      - .offset:         32
        .size:           1
        .value_kind:     by_value
      - .address_space:  global
        .offset:         40
        .size:           8
        .value_kind:     global_buffer
      - .offset:         48
        .size:           8
        .value_kind:     by_value
      - .offset:         56
        .size:           8
        .value_kind:     by_value
      - .offset:         64
        .size:           8
        .value_kind:     by_value
      - .offset:         72
        .size:           8
        .value_kind:     by_value
      - .offset:         80
        .size:           1
        .value_kind:     by_value
      - .address_space:  global
        .offset:         88
        .size:           8
        .value_kind:     global_buffer
      - .offset:         96
        .size:           8
        .value_kind:     by_value
      - .offset:         104
        .size:           8
        .value_kind:     by_value
      - .offset:         112
        .size:           8
        .value_kind:     by_value
      - .offset:         120
        .size:           8
        .value_kind:     by_value
      - .address_space:  global
        .offset:         128
        .size:           8
        .value_kind:     global_buffer
      - .address_space:  global
        .offset:         136
        .size:           8
        .value_kind:     global_buffer
      - .offset:         144
        .size:           8
        .value_kind:     by_value
      - .offset:         152
        .size:           8
        .value_kind:     by_value
      - .offset:         160
        .size:           8
        .value_kind:     by_value
      - .offset:         168
        .size:           8
        .value_kind:     by_value
      - .offset:         176
        .size:           4
        .value_kind:     hidden_block_count_x
      - .offset:         180
        .size:           4
        .value_kind:     hidden_block_count_y
      - .offset:         184
        .size:           4
        .value_kind:     hidden_block_count_z
      - .offset:         188
        .size:           2
        .value_kind:     hidden_group_size_x
      - .offset:         190
        .size:           2
        .value_kind:     hidden_group_size_y
      - .offset:         192
        .size:           2
        .value_kind:     hidden_group_size_z
      - .offset:         194
        .size:           2
        .value_kind:     hidden_remainder_x
      - .offset:         196
        .size:           2
        .value_kind:     hidden_remainder_y
      - .offset:         198
        .size:           2
        .value_kind:     hidden_remainder_z
      - .offset:         216
        .size:           8
        .value_kind:     hidden_global_offset_x
      - .offset:         224
        .size:           8
        .value_kind:     hidden_global_offset_y
      - .offset:         232
        .size:           8
        .value_kind:     hidden_global_offset_z
      - .offset:         240
        .size:           2
        .value_kind:     hidden_grid_dims
    .group_segment_fixed_size: 0
    .kernarg_segment_align: 8
    .kernarg_segment_size: 432
    .language:       OpenCL C
    .language_version:
      - 2
      - 0
    .max_flat_workgroup_size: 1024
    .name:           _ZN9rocsolver6v33100L11gemm_kernelI19rocblas_complex_numIdElPKS3_PS3_PKS6_S8_EEvT0_S9_S9_T1_bT2_lS9_S9_lbT3_lS9_S9_lSA_T4_lS9_S9_l
    .private_segment_fixed_size: 0
    .sgpr_count:     56
    .sgpr_spill_count: 0
    .symbol:         _ZN9rocsolver6v33100L11gemm_kernelI19rocblas_complex_numIdElPKS3_PS3_PKS6_S8_EEvT0_S9_S9_T1_bT2_lS9_S9_lbT3_lS9_S9_lSA_T4_lS9_S9_l.kd
    .uniform_work_group_size: 1
    .uses_dynamic_stack: false
    .vgpr_count:     24
    .vgpr_spill_count: 0
    .wavefront_size: 64
  - .args:
      - .offset:         0
        .size:           8
        .value_kind:     by_value
      - .offset:         8
        .size:           8
        .value_kind:     by_value
      - .offset:         16
        .size:           8
        .value_kind:     by_value
      - .offset:         24
        .size:           16
        .value_kind:     by_value
      - .offset:         40
        .size:           1
        .value_kind:     by_value
      - .address_space:  global
        .offset:         48
        .size:           8
        .value_kind:     global_buffer
      - .offset:         56
        .size:           8
        .value_kind:     by_value
      - .offset:         64
        .size:           8
        .value_kind:     by_value
      - .offset:         72
        .size:           8
        .value_kind:     by_value
      - .offset:         80
        .size:           8
        .value_kind:     by_value
      - .offset:         88
        .size:           1
        .value_kind:     by_value
      - .address_space:  global
        .offset:         96
        .size:           8
        .value_kind:     global_buffer
      - .offset:         104
        .size:           8
        .value_kind:     by_value
      - .offset:         112
        .size:           8
        .value_kind:     by_value
      - .offset:         120
        .size:           8
        .value_kind:     by_value
      - .offset:         128
        .size:           8
        .value_kind:     by_value
      - .offset:         136
        .size:           16
        .value_kind:     by_value
      - .address_space:  global
        .offset:         152
        .size:           8
        .value_kind:     global_buffer
      - .offset:         160
        .size:           8
        .value_kind:     by_value
      - .offset:         168
        .size:           8
        .value_kind:     by_value
      - .offset:         176
        .size:           8
        .value_kind:     by_value
      - .offset:         184
        .size:           8
        .value_kind:     by_value
      - .offset:         192
        .size:           4
        .value_kind:     hidden_block_count_x
      - .offset:         196
        .size:           4
        .value_kind:     hidden_block_count_y
      - .offset:         200
        .size:           4
        .value_kind:     hidden_block_count_z
      - .offset:         204
        .size:           2
        .value_kind:     hidden_group_size_x
      - .offset:         206
        .size:           2
        .value_kind:     hidden_group_size_y
      - .offset:         208
        .size:           2
        .value_kind:     hidden_group_size_z
      - .offset:         210
        .size:           2
        .value_kind:     hidden_remainder_x
      - .offset:         212
        .size:           2
        .value_kind:     hidden_remainder_y
      - .offset:         214
        .size:           2
        .value_kind:     hidden_remainder_z
      - .offset:         232
        .size:           8
        .value_kind:     hidden_global_offset_x
      - .offset:         240
        .size:           8
        .value_kind:     hidden_global_offset_y
      - .offset:         248
        .size:           8
        .value_kind:     hidden_global_offset_z
      - .offset:         256
        .size:           2
        .value_kind:     hidden_grid_dims
    .group_segment_fixed_size: 0
    .kernarg_segment_align: 8
    .kernarg_segment_size: 448
    .language:       OpenCL C
    .language_version:
      - 2
      - 0
    .max_flat_workgroup_size: 1024
    .name:           _ZN9rocsolver6v33100L11gemm_kernelI19rocblas_complex_numIdElS3_PS3_PKS4_S6_EEvT0_S7_S7_T1_bT2_lS7_S7_lbT3_lS7_S7_lS8_T4_lS7_S7_l
    .private_segment_fixed_size: 0
    .sgpr_count:     56
    .sgpr_spill_count: 0
    .symbol:         _ZN9rocsolver6v33100L11gemm_kernelI19rocblas_complex_numIdElS3_PS3_PKS4_S6_EEvT0_S7_S7_T1_bT2_lS7_S7_lbT3_lS7_S7_lS8_T4_lS7_S7_l.kd
    .uniform_work_group_size: 1
    .uses_dynamic_stack: false
    .vgpr_count:     24
    .vgpr_spill_count: 0
    .wavefront_size: 64
  - .args:
      - .offset:         0
        .size:           4
        .value_kind:     by_value
      - .offset:         4
        .size:           4
        .value_kind:     by_value
      - .offset:         8
        .size:           8
        .value_kind:     by_value
      - .offset:         16
        .size:           8
        .value_kind:     by_value
      - .offset:         24
        .size:           8
        .value_kind:     by_value
      - .address_space:  global
        .offset:         32
        .size:           8
        .value_kind:     global_buffer
      - .address_space:  global
        .offset:         40
        .size:           8
        .value_kind:     global_buffer
      - .offset:         48
        .size:           8
        .value_kind:     by_value
      - .offset:         56
        .size:           8
        .value_kind:     by_value
      - .offset:         64
        .size:           8
        .value_kind:     by_value
      - .offset:         72
        .size:           8
        .value_kind:     by_value
      - .address_space:  global
        .offset:         80
        .size:           8
        .value_kind:     global_buffer
      - .offset:         88
        .size:           8
        .value_kind:     by_value
      - .offset:         96
        .size:           8
        .value_kind:     by_value
      - .offset:         104
        .size:           8
        .value_kind:     by_value
      - .offset:         112
        .size:           8
        .value_kind:     by_value
      - .address_space:  global
        .offset:         120
        .size:           8
        .value_kind:     global_buffer
      - .address_space:  global
        .offset:         128
        .size:           8
        .value_kind:     global_buffer
      - .offset:         136
        .size:           8
        .value_kind:     by_value
      - .offset:         144
        .size:           8
        .value_kind:     by_value
      - .offset:         152
        .size:           8
        .value_kind:     by_value
      - .offset:         160
        .size:           8
        .value_kind:     by_value
    .group_segment_fixed_size: 0
    .kernarg_segment_align: 8
    .kernarg_segment_size: 168
    .language:       OpenCL C
    .language_version:
      - 2
      - 0
    .max_flat_workgroup_size: 1024
    .name:           _ZN9rocsolver6v33100L16mfma_gemm_kernelI19rocblas_complex_numIdElPKS3_PKPS3_S6_S8_EEv18rocblas_operation_S9_T0_SA_SA_T1_T2_lSA_SA_lT3_lSA_SA_lSB_T4_lSA_SA_l
    .private_segment_fixed_size: 0
    .sgpr_count:     4
    .sgpr_spill_count: 0
    .symbol:         _ZN9rocsolver6v33100L16mfma_gemm_kernelI19rocblas_complex_numIdElPKS3_PKPS3_S6_S8_EEv18rocblas_operation_S9_T0_SA_SA_T1_T2_lSA_SA_lT3_lSA_SA_lSB_T4_lSA_SA_l.kd
    .uniform_work_group_size: 1
    .uses_dynamic_stack: false
    .vgpr_count:     0
    .vgpr_spill_count: 0
    .wavefront_size: 64
  - .args:
      - .offset:         0
        .size:           4
        .value_kind:     by_value
      - .offset:         4
        .size:           4
        .value_kind:     by_value
      - .offset:         8
        .size:           8
        .value_kind:     by_value
      - .offset:         16
        .size:           8
        .value_kind:     by_value
      - .offset:         24
        .size:           8
        .value_kind:     by_value
      - .offset:         32
        .size:           16
        .value_kind:     by_value
      - .address_space:  global
        .offset:         48
        .size:           8
        .value_kind:     global_buffer
      - .offset:         56
        .size:           8
        .value_kind:     by_value
      - .offset:         64
        .size:           8
        .value_kind:     by_value
      - .offset:         72
        .size:           8
        .value_kind:     by_value
      - .offset:         80
        .size:           8
        .value_kind:     by_value
      - .address_space:  global
        .offset:         88
        .size:           8
        .value_kind:     global_buffer
      - .offset:         96
        .size:           8
        .value_kind:     by_value
      - .offset:         104
        .size:           8
        .value_kind:     by_value
      - .offset:         112
        .size:           8
        .value_kind:     by_value
      - .offset:         120
        .size:           8
        .value_kind:     by_value
      - .offset:         128
        .size:           16
        .value_kind:     by_value
      - .address_space:  global
        .offset:         144
        .size:           8
        .value_kind:     global_buffer
      - .offset:         152
        .size:           8
        .value_kind:     by_value
      - .offset:         160
        .size:           8
        .value_kind:     by_value
      - .offset:         168
        .size:           8
        .value_kind:     by_value
      - .offset:         176
        .size:           8
        .value_kind:     by_value
    .group_segment_fixed_size: 0
    .kernarg_segment_align: 8
    .kernarg_segment_size: 184
    .language:       OpenCL C
    .language_version:
      - 2
      - 0
    .max_flat_workgroup_size: 1024
    .name:           _ZN9rocsolver6v33100L16mfma_gemm_kernelI19rocblas_complex_numIdElS3_PKPS3_S4_S6_EEv18rocblas_operation_S7_T0_S8_S8_T1_T2_lS8_S8_lT3_lS8_S8_lS9_T4_lS8_S8_l
    .private_segment_fixed_size: 0
    .sgpr_count:     4
    .sgpr_spill_count: 0
    .symbol:         _ZN9rocsolver6v33100L16mfma_gemm_kernelI19rocblas_complex_numIdElS3_PKPS3_S4_S6_EEv18rocblas_operation_S7_T0_S8_S8_T1_T2_lS8_S8_lT3_lS8_S8_lS9_T4_lS8_S8_l.kd
    .uniform_work_group_size: 1
    .uses_dynamic_stack: false
    .vgpr_count:     0
    .vgpr_spill_count: 0
    .wavefront_size: 64
  - .args:
      - .offset:         0
        .size:           8
        .value_kind:     by_value
      - .offset:         8
        .size:           8
        .value_kind:     by_value
      - .offset:         16
        .size:           8
        .value_kind:     by_value
      - .address_space:  global
        .offset:         24
        .size:           8
        .value_kind:     global_buffer
      - .offset:         32
        .size:           1
        .value_kind:     by_value
      - .address_space:  global
        .offset:         40
        .size:           8
        .value_kind:     global_buffer
      - .offset:         48
        .size:           8
        .value_kind:     by_value
      - .offset:         56
        .size:           8
        .value_kind:     by_value
      - .offset:         64
        .size:           8
        .value_kind:     by_value
      - .offset:         72
        .size:           8
        .value_kind:     by_value
      - .offset:         80
        .size:           1
        .value_kind:     by_value
      - .address_space:  global
        .offset:         88
        .size:           8
        .value_kind:     global_buffer
      - .offset:         96
        .size:           8
        .value_kind:     by_value
      - .offset:         104
        .size:           8
        .value_kind:     by_value
      - .offset:         112
        .size:           8
        .value_kind:     by_value
      - .offset:         120
        .size:           8
        .value_kind:     by_value
      - .address_space:  global
        .offset:         128
        .size:           8
        .value_kind:     global_buffer
      - .address_space:  global
        .offset:         136
        .size:           8
        .value_kind:     global_buffer
      - .offset:         144
        .size:           8
        .value_kind:     by_value
      - .offset:         152
        .size:           8
        .value_kind:     by_value
      - .offset:         160
        .size:           8
        .value_kind:     by_value
      - .offset:         168
        .size:           8
        .value_kind:     by_value
      - .offset:         176
        .size:           4
        .value_kind:     hidden_block_count_x
      - .offset:         180
        .size:           4
        .value_kind:     hidden_block_count_y
      - .offset:         184
        .size:           4
        .value_kind:     hidden_block_count_z
      - .offset:         188
        .size:           2
        .value_kind:     hidden_group_size_x
      - .offset:         190
        .size:           2
        .value_kind:     hidden_group_size_y
      - .offset:         192
        .size:           2
        .value_kind:     hidden_group_size_z
      - .offset:         194
        .size:           2
        .value_kind:     hidden_remainder_x
      - .offset:         196
        .size:           2
        .value_kind:     hidden_remainder_y
      - .offset:         198
        .size:           2
        .value_kind:     hidden_remainder_z
      - .offset:         216
        .size:           8
        .value_kind:     hidden_global_offset_x
      - .offset:         224
        .size:           8
        .value_kind:     hidden_global_offset_y
      - .offset:         232
        .size:           8
        .value_kind:     hidden_global_offset_z
      - .offset:         240
        .size:           2
        .value_kind:     hidden_grid_dims
    .group_segment_fixed_size: 0
    .kernarg_segment_align: 8
    .kernarg_segment_size: 432
    .language:       OpenCL C
    .language_version:
      - 2
      - 0
    .max_flat_workgroup_size: 1024
    .name:           _ZN9rocsolver6v33100L11gemm_kernelI19rocblas_complex_numIdElPKS3_PKPS3_S6_S8_EEvT0_S9_S9_T1_bT2_lS9_S9_lbT3_lS9_S9_lSA_T4_lS9_S9_l
    .private_segment_fixed_size: 0
    .sgpr_count:     48
    .sgpr_spill_count: 0
    .symbol:         _ZN9rocsolver6v33100L11gemm_kernelI19rocblas_complex_numIdElPKS3_PKPS3_S6_S8_EEvT0_S9_S9_T1_bT2_lS9_S9_lbT3_lS9_S9_lSA_T4_lS9_S9_l.kd
    .uniform_work_group_size: 1
    .uses_dynamic_stack: false
    .vgpr_count:     24
    .vgpr_spill_count: 0
    .wavefront_size: 64
  - .args:
      - .offset:         0
        .size:           8
        .value_kind:     by_value
      - .offset:         8
        .size:           8
        .value_kind:     by_value
      - .offset:         16
        .size:           8
        .value_kind:     by_value
      - .offset:         24
        .size:           16
        .value_kind:     by_value
      - .offset:         40
        .size:           1
        .value_kind:     by_value
      - .address_space:  global
        .offset:         48
        .size:           8
        .value_kind:     global_buffer
      - .offset:         56
        .size:           8
        .value_kind:     by_value
      - .offset:         64
        .size:           8
        .value_kind:     by_value
      - .offset:         72
        .size:           8
        .value_kind:     by_value
      - .offset:         80
        .size:           8
        .value_kind:     by_value
      - .offset:         88
        .size:           1
        .value_kind:     by_value
      - .address_space:  global
        .offset:         96
        .size:           8
        .value_kind:     global_buffer
      - .offset:         104
        .size:           8
        .value_kind:     by_value
      - .offset:         112
        .size:           8
        .value_kind:     by_value
      - .offset:         120
        .size:           8
        .value_kind:     by_value
      - .offset:         128
        .size:           8
        .value_kind:     by_value
      - .offset:         136
        .size:           16
        .value_kind:     by_value
      - .address_space:  global
        .offset:         152
        .size:           8
        .value_kind:     global_buffer
      - .offset:         160
        .size:           8
        .value_kind:     by_value
      - .offset:         168
        .size:           8
        .value_kind:     by_value
      - .offset:         176
        .size:           8
        .value_kind:     by_value
      - .offset:         184
        .size:           8
        .value_kind:     by_value
      - .offset:         192
        .size:           4
        .value_kind:     hidden_block_count_x
      - .offset:         196
        .size:           4
        .value_kind:     hidden_block_count_y
      - .offset:         200
        .size:           4
        .value_kind:     hidden_block_count_z
      - .offset:         204
        .size:           2
        .value_kind:     hidden_group_size_x
      - .offset:         206
        .size:           2
        .value_kind:     hidden_group_size_y
      - .offset:         208
        .size:           2
        .value_kind:     hidden_group_size_z
      - .offset:         210
        .size:           2
        .value_kind:     hidden_remainder_x
      - .offset:         212
        .size:           2
        .value_kind:     hidden_remainder_y
      - .offset:         214
        .size:           2
        .value_kind:     hidden_remainder_z
      - .offset:         232
        .size:           8
        .value_kind:     hidden_global_offset_x
      - .offset:         240
        .size:           8
        .value_kind:     hidden_global_offset_y
      - .offset:         248
        .size:           8
        .value_kind:     hidden_global_offset_z
      - .offset:         256
        .size:           2
        .value_kind:     hidden_grid_dims
    .group_segment_fixed_size: 0
    .kernarg_segment_align: 8
    .kernarg_segment_size: 448
    .language:       OpenCL C
    .language_version:
      - 2
      - 0
    .max_flat_workgroup_size: 1024
    .name:           _ZN9rocsolver6v33100L11gemm_kernelI19rocblas_complex_numIdElS3_PKPS3_S4_S6_EEvT0_S7_S7_T1_bT2_lS7_S7_lbT3_lS7_S7_lS8_T4_lS7_S7_l
    .private_segment_fixed_size: 0
    .sgpr_count:     48
    .sgpr_spill_count: 0
    .symbol:         _ZN9rocsolver6v33100L11gemm_kernelI19rocblas_complex_numIdElS3_PKPS3_S4_S6_EEvT0_S7_S7_T1_bT2_lS7_S7_lbT3_lS7_S7_lS8_T4_lS7_S7_l.kd
    .uniform_work_group_size: 1
    .uses_dynamic_stack: false
    .vgpr_count:     24
    .vgpr_spill_count: 0
    .wavefront_size: 64
  - .args:
      - .offset:         0
        .size:           4
        .value_kind:     by_value
      - .offset:         4
        .size:           4
        .value_kind:     by_value
      - .offset:         8
        .size:           8
        .value_kind:     by_value
      - .offset:         16
        .size:           8
        .value_kind:     by_value
      - .offset:         24
        .size:           8
        .value_kind:     by_value
      - .address_space:  global
        .offset:         32
        .size:           8
        .value_kind:     global_buffer
      - .address_space:  global
        .offset:         40
        .size:           8
        .value_kind:     global_buffer
      - .offset:         48
        .size:           8
        .value_kind:     by_value
      - .offset:         56
        .size:           8
        .value_kind:     by_value
      - .offset:         64
        .size:           8
        .value_kind:     by_value
      - .offset:         72
        .size:           8
        .value_kind:     by_value
      - .address_space:  global
        .offset:         80
        .size:           8
        .value_kind:     global_buffer
      - .offset:         88
        .size:           8
        .value_kind:     by_value
      - .offset:         96
        .size:           8
        .value_kind:     by_value
      - .offset:         104
        .size:           8
        .value_kind:     by_value
      - .offset:         112
        .size:           8
        .value_kind:     by_value
      - .address_space:  global
        .offset:         120
        .size:           8
        .value_kind:     global_buffer
      - .address_space:  global
        .offset:         128
        .size:           8
        .value_kind:     global_buffer
      - .offset:         136
        .size:           8
        .value_kind:     by_value
      - .offset:         144
        .size:           8
        .value_kind:     by_value
      - .offset:         152
        .size:           8
        .value_kind:     by_value
      - .offset:         160
        .size:           8
        .value_kind:     by_value
    .group_segment_fixed_size: 0
    .kernarg_segment_align: 8
    .kernarg_segment_size: 168
    .language:       OpenCL C
    .language_version:
      - 2
      - 0
    .max_flat_workgroup_size: 1024
    .name:           _ZN9rocsolver6v33100L16mfma_gemm_kernelI19rocblas_complex_numIdElPKS3_PKPS3_S8_S6_EEv18rocblas_operation_S9_T0_SA_SA_T1_T2_lSA_SA_lT3_lSA_SA_lSB_T4_lSA_SA_l
    .private_segment_fixed_size: 0
    .sgpr_count:     4
    .sgpr_spill_count: 0
    .symbol:         _ZN9rocsolver6v33100L16mfma_gemm_kernelI19rocblas_complex_numIdElPKS3_PKPS3_S8_S6_EEv18rocblas_operation_S9_T0_SA_SA_T1_T2_lSA_SA_lT3_lSA_SA_lSB_T4_lSA_SA_l.kd
    .uniform_work_group_size: 1
    .uses_dynamic_stack: false
    .vgpr_count:     0
    .vgpr_spill_count: 0
    .wavefront_size: 64
  - .args:
      - .offset:         0
        .size:           4
        .value_kind:     by_value
      - .offset:         4
        .size:           4
        .value_kind:     by_value
      - .offset:         8
        .size:           8
        .value_kind:     by_value
      - .offset:         16
        .size:           8
        .value_kind:     by_value
      - .offset:         24
        .size:           8
        .value_kind:     by_value
      - .offset:         32
        .size:           16
        .value_kind:     by_value
      - .address_space:  global
        .offset:         48
        .size:           8
        .value_kind:     global_buffer
      - .offset:         56
        .size:           8
        .value_kind:     by_value
      - .offset:         64
        .size:           8
        .value_kind:     by_value
      - .offset:         72
        .size:           8
        .value_kind:     by_value
      - .offset:         80
        .size:           8
        .value_kind:     by_value
      - .address_space:  global
        .offset:         88
        .size:           8
        .value_kind:     global_buffer
      - .offset:         96
        .size:           8
        .value_kind:     by_value
      - .offset:         104
        .size:           8
        .value_kind:     by_value
      - .offset:         112
        .size:           8
        .value_kind:     by_value
      - .offset:         120
        .size:           8
        .value_kind:     by_value
      - .offset:         128
        .size:           16
        .value_kind:     by_value
      - .address_space:  global
        .offset:         144
        .size:           8
        .value_kind:     global_buffer
      - .offset:         152
        .size:           8
        .value_kind:     by_value
      - .offset:         160
        .size:           8
        .value_kind:     by_value
      - .offset:         168
        .size:           8
        .value_kind:     by_value
      - .offset:         176
        .size:           8
        .value_kind:     by_value
    .group_segment_fixed_size: 0
    .kernarg_segment_align: 8
    .kernarg_segment_size: 184
    .language:       OpenCL C
    .language_version:
      - 2
      - 0
    .max_flat_workgroup_size: 1024
    .name:           _ZN9rocsolver6v33100L16mfma_gemm_kernelI19rocblas_complex_numIdElS3_PKPS3_S6_S4_EEv18rocblas_operation_S7_T0_S8_S8_T1_T2_lS8_S8_lT3_lS8_S8_lS9_T4_lS8_S8_l
    .private_segment_fixed_size: 0
    .sgpr_count:     4
    .sgpr_spill_count: 0
    .symbol:         _ZN9rocsolver6v33100L16mfma_gemm_kernelI19rocblas_complex_numIdElS3_PKPS3_S6_S4_EEv18rocblas_operation_S7_T0_S8_S8_T1_T2_lS8_S8_lT3_lS8_S8_lS9_T4_lS8_S8_l.kd
    .uniform_work_group_size: 1
    .uses_dynamic_stack: false
    .vgpr_count:     0
    .vgpr_spill_count: 0
    .wavefront_size: 64
  - .args:
      - .offset:         0
        .size:           8
        .value_kind:     by_value
      - .offset:         8
        .size:           8
        .value_kind:     by_value
      - .offset:         16
        .size:           8
        .value_kind:     by_value
      - .address_space:  global
        .offset:         24
        .size:           8
        .value_kind:     global_buffer
      - .offset:         32
        .size:           1
        .value_kind:     by_value
      - .address_space:  global
        .offset:         40
        .size:           8
        .value_kind:     global_buffer
      - .offset:         48
        .size:           8
        .value_kind:     by_value
      - .offset:         56
        .size:           8
        .value_kind:     by_value
      - .offset:         64
        .size:           8
        .value_kind:     by_value
      - .offset:         72
        .size:           8
        .value_kind:     by_value
      - .offset:         80
        .size:           1
        .value_kind:     by_value
      - .address_space:  global
        .offset:         88
        .size:           8
        .value_kind:     global_buffer
      - .offset:         96
        .size:           8
        .value_kind:     by_value
      - .offset:         104
        .size:           8
        .value_kind:     by_value
      - .offset:         112
        .size:           8
        .value_kind:     by_value
      - .offset:         120
        .size:           8
        .value_kind:     by_value
      - .address_space:  global
        .offset:         128
        .size:           8
        .value_kind:     global_buffer
      - .address_space:  global
        .offset:         136
        .size:           8
        .value_kind:     global_buffer
      - .offset:         144
        .size:           8
        .value_kind:     by_value
      - .offset:         152
        .size:           8
        .value_kind:     by_value
      - .offset:         160
        .size:           8
        .value_kind:     by_value
      - .offset:         168
        .size:           8
        .value_kind:     by_value
      - .offset:         176
        .size:           4
        .value_kind:     hidden_block_count_x
      - .offset:         180
        .size:           4
        .value_kind:     hidden_block_count_y
      - .offset:         184
        .size:           4
        .value_kind:     hidden_block_count_z
      - .offset:         188
        .size:           2
        .value_kind:     hidden_group_size_x
      - .offset:         190
        .size:           2
        .value_kind:     hidden_group_size_y
      - .offset:         192
        .size:           2
        .value_kind:     hidden_group_size_z
      - .offset:         194
        .size:           2
        .value_kind:     hidden_remainder_x
      - .offset:         196
        .size:           2
        .value_kind:     hidden_remainder_y
      - .offset:         198
        .size:           2
        .value_kind:     hidden_remainder_z
      - .offset:         216
        .size:           8
        .value_kind:     hidden_global_offset_x
      - .offset:         224
        .size:           8
        .value_kind:     hidden_global_offset_y
      - .offset:         232
        .size:           8
        .value_kind:     hidden_global_offset_z
      - .offset:         240
        .size:           2
        .value_kind:     hidden_grid_dims
    .group_segment_fixed_size: 0
    .kernarg_segment_align: 8
    .kernarg_segment_size: 432
    .language:       OpenCL C
    .language_version:
      - 2
      - 0
    .max_flat_workgroup_size: 1024
    .name:           _ZN9rocsolver6v33100L11gemm_kernelI19rocblas_complex_numIdElPKS3_PKPS3_S8_S6_EEvT0_S9_S9_T1_bT2_lS9_S9_lbT3_lS9_S9_lSA_T4_lS9_S9_l
    .private_segment_fixed_size: 0
    .sgpr_count:     52
    .sgpr_spill_count: 0
    .symbol:         _ZN9rocsolver6v33100L11gemm_kernelI19rocblas_complex_numIdElPKS3_PKPS3_S8_S6_EEvT0_S9_S9_T1_bT2_lS9_S9_lbT3_lS9_S9_lSA_T4_lS9_S9_l.kd
    .uniform_work_group_size: 1
    .uses_dynamic_stack: false
    .vgpr_count:     24
    .vgpr_spill_count: 0
    .wavefront_size: 64
  - .args:
      - .offset:         0
        .size:           8
        .value_kind:     by_value
      - .offset:         8
        .size:           8
        .value_kind:     by_value
      - .offset:         16
        .size:           8
        .value_kind:     by_value
      - .offset:         24
        .size:           16
        .value_kind:     by_value
      - .offset:         40
        .size:           1
        .value_kind:     by_value
      - .address_space:  global
        .offset:         48
        .size:           8
        .value_kind:     global_buffer
      - .offset:         56
        .size:           8
        .value_kind:     by_value
      - .offset:         64
        .size:           8
        .value_kind:     by_value
      - .offset:         72
        .size:           8
        .value_kind:     by_value
      - .offset:         80
        .size:           8
        .value_kind:     by_value
      - .offset:         88
        .size:           1
        .value_kind:     by_value
      - .address_space:  global
        .offset:         96
        .size:           8
        .value_kind:     global_buffer
      - .offset:         104
        .size:           8
        .value_kind:     by_value
      - .offset:         112
        .size:           8
        .value_kind:     by_value
      - .offset:         120
        .size:           8
        .value_kind:     by_value
      - .offset:         128
        .size:           8
        .value_kind:     by_value
      - .offset:         136
        .size:           16
        .value_kind:     by_value
      - .address_space:  global
        .offset:         152
        .size:           8
        .value_kind:     global_buffer
      - .offset:         160
        .size:           8
        .value_kind:     by_value
      - .offset:         168
        .size:           8
        .value_kind:     by_value
      - .offset:         176
        .size:           8
        .value_kind:     by_value
      - .offset:         184
        .size:           8
        .value_kind:     by_value
      - .offset:         192
        .size:           4
        .value_kind:     hidden_block_count_x
      - .offset:         196
        .size:           4
        .value_kind:     hidden_block_count_y
      - .offset:         200
        .size:           4
        .value_kind:     hidden_block_count_z
      - .offset:         204
        .size:           2
        .value_kind:     hidden_group_size_x
      - .offset:         206
        .size:           2
        .value_kind:     hidden_group_size_y
      - .offset:         208
        .size:           2
        .value_kind:     hidden_group_size_z
      - .offset:         210
        .size:           2
        .value_kind:     hidden_remainder_x
      - .offset:         212
        .size:           2
        .value_kind:     hidden_remainder_y
      - .offset:         214
        .size:           2
        .value_kind:     hidden_remainder_z
      - .offset:         232
        .size:           8
        .value_kind:     hidden_global_offset_x
      - .offset:         240
        .size:           8
        .value_kind:     hidden_global_offset_y
      - .offset:         248
        .size:           8
        .value_kind:     hidden_global_offset_z
      - .offset:         256
        .size:           2
        .value_kind:     hidden_grid_dims
    .group_segment_fixed_size: 0
    .kernarg_segment_align: 8
    .kernarg_segment_size: 448
    .language:       OpenCL C
    .language_version:
      - 2
      - 0
    .max_flat_workgroup_size: 1024
    .name:           _ZN9rocsolver6v33100L11gemm_kernelI19rocblas_complex_numIdElS3_PKPS3_S6_S4_EEvT0_S7_S7_T1_bT2_lS7_S7_lbT3_lS7_S7_lS8_T4_lS7_S7_l
    .private_segment_fixed_size: 0
    .sgpr_count:     56
    .sgpr_spill_count: 0
    .symbol:         _ZN9rocsolver6v33100L11gemm_kernelI19rocblas_complex_numIdElS3_PKPS3_S6_S4_EEvT0_S7_S7_T1_bT2_lS7_S7_lbT3_lS7_S7_lS8_T4_lS7_S7_l.kd
    .uniform_work_group_size: 1
    .uses_dynamic_stack: false
    .vgpr_count:     24
    .vgpr_spill_count: 0
    .wavefront_size: 64
  - .args:
      - .offset:         0
        .size:           4
        .value_kind:     by_value
      - .offset:         4
        .size:           4
        .value_kind:     by_value
      - .offset:         8
        .size:           8
        .value_kind:     by_value
      - .offset:         16
        .size:           8
        .value_kind:     by_value
      - .offset:         24
        .size:           8
        .value_kind:     by_value
      - .address_space:  global
        .offset:         32
        .size:           8
        .value_kind:     global_buffer
      - .address_space:  global
        .offset:         40
        .size:           8
        .value_kind:     global_buffer
      - .offset:         48
        .size:           8
        .value_kind:     by_value
      - .offset:         56
        .size:           8
        .value_kind:     by_value
      - .offset:         64
        .size:           8
        .value_kind:     by_value
      - .offset:         72
        .size:           8
        .value_kind:     by_value
      - .address_space:  global
        .offset:         80
        .size:           8
        .value_kind:     global_buffer
      - .offset:         88
        .size:           8
        .value_kind:     by_value
      - .offset:         96
        .size:           8
        .value_kind:     by_value
      - .offset:         104
        .size:           8
        .value_kind:     by_value
      - .offset:         112
        .size:           8
        .value_kind:     by_value
      - .address_space:  global
        .offset:         120
        .size:           8
        .value_kind:     global_buffer
      - .address_space:  global
        .offset:         128
        .size:           8
        .value_kind:     global_buffer
      - .offset:         136
        .size:           8
        .value_kind:     by_value
      - .offset:         144
        .size:           8
        .value_kind:     by_value
      - .offset:         152
        .size:           8
        .value_kind:     by_value
      - .offset:         160
        .size:           8
        .value_kind:     by_value
    .group_segment_fixed_size: 0
    .kernarg_segment_align: 8
    .kernarg_segment_size: 168
    .language:       OpenCL C
    .language_version:
      - 2
      - 0
    .max_flat_workgroup_size: 1024
    .name:           _ZN9rocsolver6v33100L16mfma_gemm_kernelI19rocblas_complex_numIdElPKS3_PKPS3_S6_S6_EEv18rocblas_operation_S9_T0_SA_SA_T1_T2_lSA_SA_lT3_lSA_SA_lSB_T4_lSA_SA_l
    .private_segment_fixed_size: 0
    .sgpr_count:     4
    .sgpr_spill_count: 0
    .symbol:         _ZN9rocsolver6v33100L16mfma_gemm_kernelI19rocblas_complex_numIdElPKS3_PKPS3_S6_S6_EEv18rocblas_operation_S9_T0_SA_SA_T1_T2_lSA_SA_lT3_lSA_SA_lSB_T4_lSA_SA_l.kd
    .uniform_work_group_size: 1
    .uses_dynamic_stack: false
    .vgpr_count:     0
    .vgpr_spill_count: 0
    .wavefront_size: 64
  - .args:
      - .offset:         0
        .size:           4
        .value_kind:     by_value
      - .offset:         4
        .size:           4
        .value_kind:     by_value
      - .offset:         8
        .size:           8
        .value_kind:     by_value
      - .offset:         16
        .size:           8
        .value_kind:     by_value
      - .offset:         24
        .size:           8
        .value_kind:     by_value
      - .offset:         32
        .size:           16
        .value_kind:     by_value
      - .address_space:  global
        .offset:         48
        .size:           8
        .value_kind:     global_buffer
      - .offset:         56
        .size:           8
        .value_kind:     by_value
      - .offset:         64
        .size:           8
        .value_kind:     by_value
      - .offset:         72
        .size:           8
        .value_kind:     by_value
      - .offset:         80
        .size:           8
        .value_kind:     by_value
      - .address_space:  global
        .offset:         88
        .size:           8
        .value_kind:     global_buffer
      - .offset:         96
        .size:           8
        .value_kind:     by_value
      - .offset:         104
        .size:           8
        .value_kind:     by_value
      - .offset:         112
        .size:           8
        .value_kind:     by_value
      - .offset:         120
        .size:           8
        .value_kind:     by_value
      - .offset:         128
        .size:           16
        .value_kind:     by_value
      - .address_space:  global
        .offset:         144
        .size:           8
        .value_kind:     global_buffer
      - .offset:         152
        .size:           8
        .value_kind:     by_value
      - .offset:         160
        .size:           8
        .value_kind:     by_value
      - .offset:         168
        .size:           8
        .value_kind:     by_value
      - .offset:         176
        .size:           8
        .value_kind:     by_value
    .group_segment_fixed_size: 0
    .kernarg_segment_align: 8
    .kernarg_segment_size: 184
    .language:       OpenCL C
    .language_version:
      - 2
      - 0
    .max_flat_workgroup_size: 1024
    .name:           _ZN9rocsolver6v33100L16mfma_gemm_kernelI19rocblas_complex_numIdElS3_PKPS3_S4_S4_EEv18rocblas_operation_S7_T0_S8_S8_T1_T2_lS8_S8_lT3_lS8_S8_lS9_T4_lS8_S8_l
    .private_segment_fixed_size: 0
    .sgpr_count:     4
    .sgpr_spill_count: 0
    .symbol:         _ZN9rocsolver6v33100L16mfma_gemm_kernelI19rocblas_complex_numIdElS3_PKPS3_S4_S4_EEv18rocblas_operation_S7_T0_S8_S8_T1_T2_lS8_S8_lT3_lS8_S8_lS9_T4_lS8_S8_l.kd
    .uniform_work_group_size: 1
    .uses_dynamic_stack: false
    .vgpr_count:     0
    .vgpr_spill_count: 0
    .wavefront_size: 64
  - .args:
      - .offset:         0
        .size:           8
        .value_kind:     by_value
      - .offset:         8
        .size:           8
        .value_kind:     by_value
      - .offset:         16
        .size:           8
        .value_kind:     by_value
      - .address_space:  global
        .offset:         24
        .size:           8
        .value_kind:     global_buffer
      - .offset:         32
        .size:           1
        .value_kind:     by_value
      - .address_space:  global
        .offset:         40
        .size:           8
        .value_kind:     global_buffer
      - .offset:         48
        .size:           8
        .value_kind:     by_value
      - .offset:         56
        .size:           8
        .value_kind:     by_value
      - .offset:         64
        .size:           8
        .value_kind:     by_value
      - .offset:         72
        .size:           8
        .value_kind:     by_value
      - .offset:         80
        .size:           1
        .value_kind:     by_value
      - .address_space:  global
        .offset:         88
        .size:           8
        .value_kind:     global_buffer
      - .offset:         96
        .size:           8
        .value_kind:     by_value
      - .offset:         104
        .size:           8
        .value_kind:     by_value
      - .offset:         112
        .size:           8
        .value_kind:     by_value
      - .offset:         120
        .size:           8
        .value_kind:     by_value
      - .address_space:  global
        .offset:         128
        .size:           8
        .value_kind:     global_buffer
      - .address_space:  global
        .offset:         136
        .size:           8
        .value_kind:     global_buffer
      - .offset:         144
        .size:           8
        .value_kind:     by_value
      - .offset:         152
        .size:           8
        .value_kind:     by_value
      - .offset:         160
        .size:           8
        .value_kind:     by_value
      - .offset:         168
        .size:           8
        .value_kind:     by_value
      - .offset:         176
        .size:           4
        .value_kind:     hidden_block_count_x
      - .offset:         180
        .size:           4
        .value_kind:     hidden_block_count_y
      - .offset:         184
        .size:           4
        .value_kind:     hidden_block_count_z
      - .offset:         188
        .size:           2
        .value_kind:     hidden_group_size_x
      - .offset:         190
        .size:           2
        .value_kind:     hidden_group_size_y
      - .offset:         192
        .size:           2
        .value_kind:     hidden_group_size_z
      - .offset:         194
        .size:           2
        .value_kind:     hidden_remainder_x
      - .offset:         196
        .size:           2
        .value_kind:     hidden_remainder_y
      - .offset:         198
        .size:           2
        .value_kind:     hidden_remainder_z
      - .offset:         216
        .size:           8
        .value_kind:     hidden_global_offset_x
      - .offset:         224
        .size:           8
        .value_kind:     hidden_global_offset_y
      - .offset:         232
        .size:           8
        .value_kind:     hidden_global_offset_z
      - .offset:         240
        .size:           2
        .value_kind:     hidden_grid_dims
    .group_segment_fixed_size: 0
    .kernarg_segment_align: 8
    .kernarg_segment_size: 432
    .language:       OpenCL C
    .language_version:
      - 2
      - 0
    .max_flat_workgroup_size: 1024
    .name:           _ZN9rocsolver6v33100L11gemm_kernelI19rocblas_complex_numIdElPKS3_PKPS3_S6_S6_EEvT0_S9_S9_T1_bT2_lS9_S9_lbT3_lS9_S9_lSA_T4_lS9_S9_l
    .private_segment_fixed_size: 0
    .sgpr_count:     48
    .sgpr_spill_count: 0
    .symbol:         _ZN9rocsolver6v33100L11gemm_kernelI19rocblas_complex_numIdElPKS3_PKPS3_S6_S6_EEvT0_S9_S9_T1_bT2_lS9_S9_lbT3_lS9_S9_lSA_T4_lS9_S9_l.kd
    .uniform_work_group_size: 1
    .uses_dynamic_stack: false
    .vgpr_count:     24
    .vgpr_spill_count: 0
    .wavefront_size: 64
  - .args:
      - .offset:         0
        .size:           8
        .value_kind:     by_value
      - .offset:         8
        .size:           8
        .value_kind:     by_value
      - .offset:         16
        .size:           8
        .value_kind:     by_value
      - .offset:         24
        .size:           16
        .value_kind:     by_value
      - .offset:         40
        .size:           1
        .value_kind:     by_value
      - .address_space:  global
        .offset:         48
        .size:           8
        .value_kind:     global_buffer
      - .offset:         56
        .size:           8
        .value_kind:     by_value
      - .offset:         64
        .size:           8
        .value_kind:     by_value
      - .offset:         72
        .size:           8
        .value_kind:     by_value
      - .offset:         80
        .size:           8
        .value_kind:     by_value
      - .offset:         88
        .size:           1
        .value_kind:     by_value
      - .address_space:  global
        .offset:         96
        .size:           8
        .value_kind:     global_buffer
      - .offset:         104
        .size:           8
        .value_kind:     by_value
      - .offset:         112
        .size:           8
        .value_kind:     by_value
      - .offset:         120
        .size:           8
        .value_kind:     by_value
      - .offset:         128
        .size:           8
        .value_kind:     by_value
      - .offset:         136
        .size:           16
        .value_kind:     by_value
      - .address_space:  global
        .offset:         152
        .size:           8
        .value_kind:     global_buffer
      - .offset:         160
        .size:           8
        .value_kind:     by_value
      - .offset:         168
        .size:           8
        .value_kind:     by_value
      - .offset:         176
        .size:           8
        .value_kind:     by_value
      - .offset:         184
        .size:           8
        .value_kind:     by_value
      - .offset:         192
        .size:           4
        .value_kind:     hidden_block_count_x
      - .offset:         196
        .size:           4
        .value_kind:     hidden_block_count_y
      - .offset:         200
        .size:           4
        .value_kind:     hidden_block_count_z
      - .offset:         204
        .size:           2
        .value_kind:     hidden_group_size_x
      - .offset:         206
        .size:           2
        .value_kind:     hidden_group_size_y
      - .offset:         208
        .size:           2
        .value_kind:     hidden_group_size_z
      - .offset:         210
        .size:           2
        .value_kind:     hidden_remainder_x
      - .offset:         212
        .size:           2
        .value_kind:     hidden_remainder_y
      - .offset:         214
        .size:           2
        .value_kind:     hidden_remainder_z
      - .offset:         232
        .size:           8
        .value_kind:     hidden_global_offset_x
      - .offset:         240
        .size:           8
        .value_kind:     hidden_global_offset_y
      - .offset:         248
        .size:           8
        .value_kind:     hidden_global_offset_z
      - .offset:         256
        .size:           2
        .value_kind:     hidden_grid_dims
    .group_segment_fixed_size: 0
    .kernarg_segment_align: 8
    .kernarg_segment_size: 448
    .language:       OpenCL C
    .language_version:
      - 2
      - 0
    .max_flat_workgroup_size: 1024
    .name:           _ZN9rocsolver6v33100L11gemm_kernelI19rocblas_complex_numIdElS3_PKPS3_S4_S4_EEvT0_S7_S7_T1_bT2_lS7_S7_lbT3_lS7_S7_lS8_T4_lS7_S7_l
    .private_segment_fixed_size: 0
    .sgpr_count:     48
    .sgpr_spill_count: 0
    .symbol:         _ZN9rocsolver6v33100L11gemm_kernelI19rocblas_complex_numIdElS3_PKPS3_S4_S4_EEvT0_S7_S7_T1_bT2_lS7_S7_lbT3_lS7_S7_lS8_T4_lS7_S7_l.kd
    .uniform_work_group_size: 1
    .uses_dynamic_stack: false
    .vgpr_count:     24
    .vgpr_spill_count: 0
    .wavefront_size: 64
  - .args:
      - .offset:         0
        .size:           4
        .value_kind:     by_value
      - .offset:         4
        .size:           4
        .value_kind:     by_value
      - .offset:         8
        .size:           8
        .value_kind:     by_value
      - .offset:         16
        .size:           8
        .value_kind:     by_value
      - .offset:         24
        .size:           8
        .value_kind:     by_value
      - .address_space:  global
        .offset:         32
        .size:           8
        .value_kind:     global_buffer
      - .address_space:  global
        .offset:         40
        .size:           8
        .value_kind:     global_buffer
      - .offset:         48
        .size:           8
        .value_kind:     by_value
      - .offset:         56
        .size:           8
        .value_kind:     by_value
      - .offset:         64
        .size:           8
        .value_kind:     by_value
      - .offset:         72
        .size:           8
        .value_kind:     by_value
      - .address_space:  global
        .offset:         80
        .size:           8
        .value_kind:     global_buffer
      - .offset:         88
        .size:           8
        .value_kind:     by_value
      - .offset:         96
        .size:           8
        .value_kind:     by_value
      - .offset:         104
        .size:           8
        .value_kind:     by_value
      - .offset:         112
        .size:           8
        .value_kind:     by_value
      - .address_space:  global
        .offset:         120
        .size:           8
        .value_kind:     global_buffer
      - .address_space:  global
        .offset:         128
        .size:           8
        .value_kind:     global_buffer
      - .offset:         136
        .size:           8
        .value_kind:     by_value
      - .offset:         144
        .size:           8
        .value_kind:     by_value
      - .offset:         152
        .size:           8
        .value_kind:     by_value
      - .offset:         160
        .size:           8
        .value_kind:     by_value
    .group_segment_fixed_size: 0
    .kernarg_segment_align: 8
    .kernarg_segment_size: 168
    .language:       OpenCL C
    .language_version:
      - 2
      - 0
    .max_flat_workgroup_size: 1024
    .name:           _ZN9rocsolver6v33100L16mfma_gemm_kernelI19rocblas_complex_numIdElPKS3_PS3_PKS6_S6_EEv18rocblas_operation_S9_T0_SA_SA_T1_T2_lSA_SA_lT3_lSA_SA_lSB_T4_lSA_SA_l
    .private_segment_fixed_size: 0
    .sgpr_count:     4
    .sgpr_spill_count: 0
    .symbol:         _ZN9rocsolver6v33100L16mfma_gemm_kernelI19rocblas_complex_numIdElPKS3_PS3_PKS6_S6_EEv18rocblas_operation_S9_T0_SA_SA_T1_T2_lSA_SA_lT3_lSA_SA_lSB_T4_lSA_SA_l.kd
    .uniform_work_group_size: 1
    .uses_dynamic_stack: false
    .vgpr_count:     0
    .vgpr_spill_count: 0
    .wavefront_size: 64
  - .args:
      - .offset:         0
        .size:           4
        .value_kind:     by_value
      - .offset:         4
        .size:           4
        .value_kind:     by_value
      - .offset:         8
        .size:           8
        .value_kind:     by_value
      - .offset:         16
        .size:           8
        .value_kind:     by_value
      - .offset:         24
        .size:           8
        .value_kind:     by_value
      - .offset:         32
        .size:           16
        .value_kind:     by_value
      - .address_space:  global
        .offset:         48
        .size:           8
        .value_kind:     global_buffer
      - .offset:         56
        .size:           8
        .value_kind:     by_value
      - .offset:         64
        .size:           8
        .value_kind:     by_value
      - .offset:         72
        .size:           8
        .value_kind:     by_value
      - .offset:         80
        .size:           8
        .value_kind:     by_value
      - .address_space:  global
        .offset:         88
        .size:           8
        .value_kind:     global_buffer
      - .offset:         96
        .size:           8
        .value_kind:     by_value
      - .offset:         104
        .size:           8
        .value_kind:     by_value
      - .offset:         112
        .size:           8
        .value_kind:     by_value
      - .offset:         120
        .size:           8
        .value_kind:     by_value
      - .offset:         128
        .size:           16
        .value_kind:     by_value
      - .address_space:  global
        .offset:         144
        .size:           8
        .value_kind:     global_buffer
      - .offset:         152
        .size:           8
        .value_kind:     by_value
      - .offset:         160
        .size:           8
        .value_kind:     by_value
      - .offset:         168
        .size:           8
        .value_kind:     by_value
      - .offset:         176
        .size:           8
        .value_kind:     by_value
    .group_segment_fixed_size: 0
    .kernarg_segment_align: 8
    .kernarg_segment_size: 184
    .language:       OpenCL C
    .language_version:
      - 2
      - 0
    .max_flat_workgroup_size: 1024
    .name:           _ZN9rocsolver6v33100L16mfma_gemm_kernelI19rocblas_complex_numIdElS3_PS3_PKS4_S4_EEv18rocblas_operation_S7_T0_S8_S8_T1_T2_lS8_S8_lT3_lS8_S8_lS9_T4_lS8_S8_l
    .private_segment_fixed_size: 0
    .sgpr_count:     4
    .sgpr_spill_count: 0
    .symbol:         _ZN9rocsolver6v33100L16mfma_gemm_kernelI19rocblas_complex_numIdElS3_PS3_PKS4_S4_EEv18rocblas_operation_S7_T0_S8_S8_T1_T2_lS8_S8_lT3_lS8_S8_lS9_T4_lS8_S8_l.kd
    .uniform_work_group_size: 1
    .uses_dynamic_stack: false
    .vgpr_count:     0
    .vgpr_spill_count: 0
    .wavefront_size: 64
  - .args:
      - .offset:         0
        .size:           8
        .value_kind:     by_value
      - .offset:         8
        .size:           8
        .value_kind:     by_value
      - .offset:         16
        .size:           8
        .value_kind:     by_value
      - .address_space:  global
        .offset:         24
        .size:           8
        .value_kind:     global_buffer
      - .offset:         32
        .size:           1
        .value_kind:     by_value
      - .address_space:  global
        .offset:         40
        .size:           8
        .value_kind:     global_buffer
      - .offset:         48
        .size:           8
        .value_kind:     by_value
      - .offset:         56
        .size:           8
        .value_kind:     by_value
      - .offset:         64
        .size:           8
        .value_kind:     by_value
      - .offset:         72
        .size:           8
        .value_kind:     by_value
      - .offset:         80
        .size:           1
        .value_kind:     by_value
      - .address_space:  global
        .offset:         88
        .size:           8
        .value_kind:     global_buffer
      - .offset:         96
        .size:           8
        .value_kind:     by_value
      - .offset:         104
        .size:           8
        .value_kind:     by_value
      - .offset:         112
        .size:           8
        .value_kind:     by_value
      - .offset:         120
        .size:           8
        .value_kind:     by_value
      - .address_space:  global
        .offset:         128
        .size:           8
        .value_kind:     global_buffer
      - .address_space:  global
        .offset:         136
        .size:           8
        .value_kind:     global_buffer
      - .offset:         144
        .size:           8
        .value_kind:     by_value
      - .offset:         152
        .size:           8
        .value_kind:     by_value
      - .offset:         160
        .size:           8
        .value_kind:     by_value
      - .offset:         168
        .size:           8
        .value_kind:     by_value
      - .offset:         176
        .size:           4
        .value_kind:     hidden_block_count_x
      - .offset:         180
        .size:           4
        .value_kind:     hidden_block_count_y
      - .offset:         184
        .size:           4
        .value_kind:     hidden_block_count_z
      - .offset:         188
        .size:           2
        .value_kind:     hidden_group_size_x
      - .offset:         190
        .size:           2
        .value_kind:     hidden_group_size_y
      - .offset:         192
        .size:           2
        .value_kind:     hidden_group_size_z
      - .offset:         194
        .size:           2
        .value_kind:     hidden_remainder_x
      - .offset:         196
        .size:           2
        .value_kind:     hidden_remainder_y
      - .offset:         198
        .size:           2
        .value_kind:     hidden_remainder_z
      - .offset:         216
        .size:           8
        .value_kind:     hidden_global_offset_x
      - .offset:         224
        .size:           8
        .value_kind:     hidden_global_offset_y
      - .offset:         232
        .size:           8
        .value_kind:     hidden_global_offset_z
      - .offset:         240
        .size:           2
        .value_kind:     hidden_grid_dims
    .group_segment_fixed_size: 0
    .kernarg_segment_align: 8
    .kernarg_segment_size: 432
    .language:       OpenCL C
    .language_version:
      - 2
      - 0
    .max_flat_workgroup_size: 1024
    .name:           _ZN9rocsolver6v33100L11gemm_kernelI19rocblas_complex_numIdElPKS3_PS3_PKS6_S6_EEvT0_S9_S9_T1_bT2_lS9_S9_lbT3_lS9_S9_lSA_T4_lS9_S9_l
    .private_segment_fixed_size: 0
    .sgpr_count:     52
    .sgpr_spill_count: 0
    .symbol:         _ZN9rocsolver6v33100L11gemm_kernelI19rocblas_complex_numIdElPKS3_PS3_PKS6_S6_EEvT0_S9_S9_T1_bT2_lS9_S9_lbT3_lS9_S9_lSA_T4_lS9_S9_l.kd
    .uniform_work_group_size: 1
    .uses_dynamic_stack: false
    .vgpr_count:     24
    .vgpr_spill_count: 0
    .wavefront_size: 64
  - .args:
      - .offset:         0
        .size:           8
        .value_kind:     by_value
      - .offset:         8
        .size:           8
        .value_kind:     by_value
      - .offset:         16
        .size:           8
        .value_kind:     by_value
      - .offset:         24
        .size:           16
        .value_kind:     by_value
      - .offset:         40
        .size:           1
        .value_kind:     by_value
      - .address_space:  global
        .offset:         48
        .size:           8
        .value_kind:     global_buffer
      - .offset:         56
        .size:           8
        .value_kind:     by_value
      - .offset:         64
        .size:           8
        .value_kind:     by_value
      - .offset:         72
        .size:           8
        .value_kind:     by_value
      - .offset:         80
        .size:           8
        .value_kind:     by_value
      - .offset:         88
        .size:           1
        .value_kind:     by_value
      - .address_space:  global
        .offset:         96
        .size:           8
        .value_kind:     global_buffer
      - .offset:         104
        .size:           8
        .value_kind:     by_value
      - .offset:         112
        .size:           8
        .value_kind:     by_value
      - .offset:         120
        .size:           8
        .value_kind:     by_value
      - .offset:         128
        .size:           8
        .value_kind:     by_value
      - .offset:         136
        .size:           16
        .value_kind:     by_value
      - .address_space:  global
        .offset:         152
        .size:           8
        .value_kind:     global_buffer
      - .offset:         160
        .size:           8
        .value_kind:     by_value
      - .offset:         168
        .size:           8
        .value_kind:     by_value
      - .offset:         176
        .size:           8
        .value_kind:     by_value
      - .offset:         184
        .size:           8
        .value_kind:     by_value
      - .offset:         192
        .size:           4
        .value_kind:     hidden_block_count_x
      - .offset:         196
        .size:           4
        .value_kind:     hidden_block_count_y
      - .offset:         200
        .size:           4
        .value_kind:     hidden_block_count_z
      - .offset:         204
        .size:           2
        .value_kind:     hidden_group_size_x
      - .offset:         206
        .size:           2
        .value_kind:     hidden_group_size_y
      - .offset:         208
        .size:           2
        .value_kind:     hidden_group_size_z
      - .offset:         210
        .size:           2
        .value_kind:     hidden_remainder_x
      - .offset:         212
        .size:           2
        .value_kind:     hidden_remainder_y
      - .offset:         214
        .size:           2
        .value_kind:     hidden_remainder_z
      - .offset:         232
        .size:           8
        .value_kind:     hidden_global_offset_x
      - .offset:         240
        .size:           8
        .value_kind:     hidden_global_offset_y
      - .offset:         248
        .size:           8
        .value_kind:     hidden_global_offset_z
      - .offset:         256
        .size:           2
        .value_kind:     hidden_grid_dims
    .group_segment_fixed_size: 0
    .kernarg_segment_align: 8
    .kernarg_segment_size: 448
    .language:       OpenCL C
    .language_version:
      - 2
      - 0
    .max_flat_workgroup_size: 1024
    .name:           _ZN9rocsolver6v33100L11gemm_kernelI19rocblas_complex_numIdElS3_PS3_PKS4_S4_EEvT0_S7_S7_T1_bT2_lS7_S7_lbT3_lS7_S7_lS8_T4_lS7_S7_l
    .private_segment_fixed_size: 0
    .sgpr_count:     56
    .sgpr_spill_count: 0
    .symbol:         _ZN9rocsolver6v33100L11gemm_kernelI19rocblas_complex_numIdElS3_PS3_PKS4_S4_EEvT0_S7_S7_T1_bT2_lS7_S7_lbT3_lS7_S7_lS8_T4_lS7_S7_l.kd
    .uniform_work_group_size: 1
    .uses_dynamic_stack: false
    .vgpr_count:     24
    .vgpr_spill_count: 0
    .wavefront_size: 64
  - .args:
      - .offset:         0
        .size:           4
        .value_kind:     by_value
      - .offset:         4
        .size:           4
        .value_kind:     by_value
      - .offset:         8
        .size:           8
        .value_kind:     by_value
      - .offset:         16
        .size:           8
        .value_kind:     by_value
      - .offset:         24
        .size:           8
        .value_kind:     by_value
      - .address_space:  global
        .offset:         32
        .size:           8
        .value_kind:     global_buffer
      - .address_space:  global
        .offset:         40
        .size:           8
        .value_kind:     global_buffer
      - .offset:         48
        .size:           8
        .value_kind:     by_value
      - .offset:         56
        .size:           8
        .value_kind:     by_value
      - .offset:         64
        .size:           8
        .value_kind:     by_value
      - .offset:         72
        .size:           8
        .value_kind:     by_value
      - .address_space:  global
        .offset:         80
        .size:           8
        .value_kind:     global_buffer
      - .offset:         88
        .size:           8
        .value_kind:     by_value
      - .offset:         96
        .size:           8
        .value_kind:     by_value
      - .offset:         104
        .size:           8
        .value_kind:     by_value
      - .offset:         112
        .size:           8
        .value_kind:     by_value
      - .address_space:  global
        .offset:         120
        .size:           8
        .value_kind:     global_buffer
      - .address_space:  global
        .offset:         128
        .size:           8
        .value_kind:     global_buffer
      - .offset:         136
        .size:           8
        .value_kind:     by_value
      - .offset:         144
        .size:           8
        .value_kind:     by_value
      - .offset:         152
        .size:           8
        .value_kind:     by_value
      - .offset:         160
        .size:           8
        .value_kind:     by_value
    .group_segment_fixed_size: 0
    .kernarg_segment_align: 8
    .kernarg_segment_size: 168
    .language:       OpenCL C
    .language_version:
      - 2
      - 0
    .max_flat_workgroup_size: 1024
    .name:           _ZN9rocsolver6v33100L16mfma_gemm_kernelI19rocblas_complex_numIdElPKS3_PS3_S6_PKS6_EEv18rocblas_operation_S9_T0_SA_SA_T1_T2_lSA_SA_lT3_lSA_SA_lSB_T4_lSA_SA_l
    .private_segment_fixed_size: 0
    .sgpr_count:     4
    .sgpr_spill_count: 0
    .symbol:         _ZN9rocsolver6v33100L16mfma_gemm_kernelI19rocblas_complex_numIdElPKS3_PS3_S6_PKS6_EEv18rocblas_operation_S9_T0_SA_SA_T1_T2_lSA_SA_lT3_lSA_SA_lSB_T4_lSA_SA_l.kd
    .uniform_work_group_size: 1
    .uses_dynamic_stack: false
    .vgpr_count:     0
    .vgpr_spill_count: 0
    .wavefront_size: 64
  - .args:
      - .offset:         0
        .size:           4
        .value_kind:     by_value
      - .offset:         4
        .size:           4
        .value_kind:     by_value
      - .offset:         8
        .size:           8
        .value_kind:     by_value
      - .offset:         16
        .size:           8
        .value_kind:     by_value
      - .offset:         24
        .size:           8
        .value_kind:     by_value
      - .offset:         32
        .size:           16
        .value_kind:     by_value
      - .address_space:  global
        .offset:         48
        .size:           8
        .value_kind:     global_buffer
      - .offset:         56
        .size:           8
        .value_kind:     by_value
      - .offset:         64
        .size:           8
        .value_kind:     by_value
      - .offset:         72
        .size:           8
        .value_kind:     by_value
      - .offset:         80
        .size:           8
        .value_kind:     by_value
      - .address_space:  global
        .offset:         88
        .size:           8
        .value_kind:     global_buffer
      - .offset:         96
        .size:           8
        .value_kind:     by_value
      - .offset:         104
        .size:           8
        .value_kind:     by_value
      - .offset:         112
        .size:           8
        .value_kind:     by_value
      - .offset:         120
        .size:           8
        .value_kind:     by_value
      - .offset:         128
        .size:           16
        .value_kind:     by_value
      - .address_space:  global
        .offset:         144
        .size:           8
        .value_kind:     global_buffer
      - .offset:         152
        .size:           8
        .value_kind:     by_value
      - .offset:         160
        .size:           8
        .value_kind:     by_value
      - .offset:         168
        .size:           8
        .value_kind:     by_value
      - .offset:         176
        .size:           8
        .value_kind:     by_value
    .group_segment_fixed_size: 0
    .kernarg_segment_align: 8
    .kernarg_segment_size: 184
    .language:       OpenCL C
    .language_version:
      - 2
      - 0
    .max_flat_workgroup_size: 1024
    .name:           _ZN9rocsolver6v33100L16mfma_gemm_kernelI19rocblas_complex_numIdElS3_PS3_S4_PKS4_EEv18rocblas_operation_S7_T0_S8_S8_T1_T2_lS8_S8_lT3_lS8_S8_lS9_T4_lS8_S8_l
    .private_segment_fixed_size: 0
    .sgpr_count:     4
    .sgpr_spill_count: 0
    .symbol:         _ZN9rocsolver6v33100L16mfma_gemm_kernelI19rocblas_complex_numIdElS3_PS3_S4_PKS4_EEv18rocblas_operation_S7_T0_S8_S8_T1_T2_lS8_S8_lT3_lS8_S8_lS9_T4_lS8_S8_l.kd
    .uniform_work_group_size: 1
    .uses_dynamic_stack: false
    .vgpr_count:     0
    .vgpr_spill_count: 0
    .wavefront_size: 64
  - .args:
      - .offset:         0
        .size:           8
        .value_kind:     by_value
      - .offset:         8
        .size:           8
        .value_kind:     by_value
      - .offset:         16
        .size:           8
        .value_kind:     by_value
      - .address_space:  global
        .offset:         24
        .size:           8
        .value_kind:     global_buffer
      - .offset:         32
        .size:           1
        .value_kind:     by_value
      - .address_space:  global
        .offset:         40
        .size:           8
        .value_kind:     global_buffer
      - .offset:         48
        .size:           8
        .value_kind:     by_value
      - .offset:         56
        .size:           8
        .value_kind:     by_value
      - .offset:         64
        .size:           8
        .value_kind:     by_value
      - .offset:         72
        .size:           8
        .value_kind:     by_value
      - .offset:         80
        .size:           1
        .value_kind:     by_value
      - .address_space:  global
        .offset:         88
        .size:           8
        .value_kind:     global_buffer
      - .offset:         96
        .size:           8
        .value_kind:     by_value
      - .offset:         104
        .size:           8
        .value_kind:     by_value
      - .offset:         112
        .size:           8
        .value_kind:     by_value
      - .offset:         120
        .size:           8
        .value_kind:     by_value
      - .address_space:  global
        .offset:         128
        .size:           8
        .value_kind:     global_buffer
      - .address_space:  global
        .offset:         136
        .size:           8
        .value_kind:     global_buffer
      - .offset:         144
        .size:           8
        .value_kind:     by_value
      - .offset:         152
        .size:           8
        .value_kind:     by_value
      - .offset:         160
        .size:           8
        .value_kind:     by_value
      - .offset:         168
        .size:           8
        .value_kind:     by_value
      - .offset:         176
        .size:           4
        .value_kind:     hidden_block_count_x
      - .offset:         180
        .size:           4
        .value_kind:     hidden_block_count_y
      - .offset:         184
        .size:           4
        .value_kind:     hidden_block_count_z
      - .offset:         188
        .size:           2
        .value_kind:     hidden_group_size_x
      - .offset:         190
        .size:           2
        .value_kind:     hidden_group_size_y
      - .offset:         192
        .size:           2
        .value_kind:     hidden_group_size_z
      - .offset:         194
        .size:           2
        .value_kind:     hidden_remainder_x
      - .offset:         196
        .size:           2
        .value_kind:     hidden_remainder_y
      - .offset:         198
        .size:           2
        .value_kind:     hidden_remainder_z
      - .offset:         216
        .size:           8
        .value_kind:     hidden_global_offset_x
      - .offset:         224
        .size:           8
        .value_kind:     hidden_global_offset_y
      - .offset:         232
        .size:           8
        .value_kind:     hidden_global_offset_z
      - .offset:         240
        .size:           2
        .value_kind:     hidden_grid_dims
    .group_segment_fixed_size: 0
    .kernarg_segment_align: 8
    .kernarg_segment_size: 432
    .language:       OpenCL C
    .language_version:
      - 2
      - 0
    .max_flat_workgroup_size: 1024
    .name:           _ZN9rocsolver6v33100L11gemm_kernelI19rocblas_complex_numIdElPKS3_PS3_S6_PKS6_EEvT0_S9_S9_T1_bT2_lS9_S9_lbT3_lS9_S9_lSA_T4_lS9_S9_l
    .private_segment_fixed_size: 0
    .sgpr_count:     48
    .sgpr_spill_count: 0
    .symbol:         _ZN9rocsolver6v33100L11gemm_kernelI19rocblas_complex_numIdElPKS3_PS3_S6_PKS6_EEvT0_S9_S9_T1_bT2_lS9_S9_lbT3_lS9_S9_lSA_T4_lS9_S9_l.kd
    .uniform_work_group_size: 1
    .uses_dynamic_stack: false
    .vgpr_count:     24
    .vgpr_spill_count: 0
    .wavefront_size: 64
  - .args:
      - .offset:         0
        .size:           8
        .value_kind:     by_value
      - .offset:         8
        .size:           8
        .value_kind:     by_value
      - .offset:         16
        .size:           8
        .value_kind:     by_value
      - .offset:         24
        .size:           16
        .value_kind:     by_value
      - .offset:         40
        .size:           1
        .value_kind:     by_value
      - .address_space:  global
        .offset:         48
        .size:           8
        .value_kind:     global_buffer
      - .offset:         56
        .size:           8
        .value_kind:     by_value
      - .offset:         64
        .size:           8
        .value_kind:     by_value
      - .offset:         72
        .size:           8
        .value_kind:     by_value
      - .offset:         80
        .size:           8
        .value_kind:     by_value
      - .offset:         88
        .size:           1
        .value_kind:     by_value
      - .address_space:  global
        .offset:         96
        .size:           8
        .value_kind:     global_buffer
      - .offset:         104
        .size:           8
        .value_kind:     by_value
      - .offset:         112
        .size:           8
        .value_kind:     by_value
      - .offset:         120
        .size:           8
        .value_kind:     by_value
      - .offset:         128
        .size:           8
        .value_kind:     by_value
      - .offset:         136
        .size:           16
        .value_kind:     by_value
      - .address_space:  global
        .offset:         152
        .size:           8
        .value_kind:     global_buffer
      - .offset:         160
        .size:           8
        .value_kind:     by_value
      - .offset:         168
        .size:           8
        .value_kind:     by_value
      - .offset:         176
        .size:           8
        .value_kind:     by_value
      - .offset:         184
        .size:           8
        .value_kind:     by_value
      - .offset:         192
        .size:           4
        .value_kind:     hidden_block_count_x
      - .offset:         196
        .size:           4
        .value_kind:     hidden_block_count_y
      - .offset:         200
        .size:           4
        .value_kind:     hidden_block_count_z
      - .offset:         204
        .size:           2
        .value_kind:     hidden_group_size_x
      - .offset:         206
        .size:           2
        .value_kind:     hidden_group_size_y
      - .offset:         208
        .size:           2
        .value_kind:     hidden_group_size_z
      - .offset:         210
        .size:           2
        .value_kind:     hidden_remainder_x
      - .offset:         212
        .size:           2
        .value_kind:     hidden_remainder_y
      - .offset:         214
        .size:           2
        .value_kind:     hidden_remainder_z
      - .offset:         232
        .size:           8
        .value_kind:     hidden_global_offset_x
      - .offset:         240
        .size:           8
        .value_kind:     hidden_global_offset_y
      - .offset:         248
        .size:           8
        .value_kind:     hidden_global_offset_z
      - .offset:         256
        .size:           2
        .value_kind:     hidden_grid_dims
    .group_segment_fixed_size: 0
    .kernarg_segment_align: 8
    .kernarg_segment_size: 448
    .language:       OpenCL C
    .language_version:
      - 2
      - 0
    .max_flat_workgroup_size: 1024
    .name:           _ZN9rocsolver6v33100L11gemm_kernelI19rocblas_complex_numIdElS3_PS3_S4_PKS4_EEvT0_S7_S7_T1_bT2_lS7_S7_lbT3_lS7_S7_lS8_T4_lS7_S7_l
    .private_segment_fixed_size: 0
    .sgpr_count:     48
    .sgpr_spill_count: 0
    .symbol:         _ZN9rocsolver6v33100L11gemm_kernelI19rocblas_complex_numIdElS3_PS3_S4_PKS4_EEvT0_S7_S7_T1_bT2_lS7_S7_lbT3_lS7_S7_lS8_T4_lS7_S7_l.kd
    .uniform_work_group_size: 1
    .uses_dynamic_stack: false
    .vgpr_count:     24
    .vgpr_spill_count: 0
    .wavefront_size: 64
amdhsa.target:   amdgcn-amd-amdhsa--gfx906
amdhsa.version:
  - 1
  - 2
...

	.end_amdgpu_metadata
